;; amdgpu-corpus repo=ROCm/rocSPARSE kind=compiled arch=gfx1100 opt=O3
	.text
	.amdgcn_target "amdgcn-amd-amdhsa--gfx1100"
	.amdhsa_code_object_version 6
	.section	.text._ZN9rocsparseL28coommnn_general_block_reduceILj1024EfifEEvT1_S1_PKS1_PKT0_PT2_ll16rocsparse_order_,"axG",@progbits,_ZN9rocsparseL28coommnn_general_block_reduceILj1024EfifEEvT1_S1_PKS1_PKT0_PT2_ll16rocsparse_order_,comdat
	.globl	_ZN9rocsparseL28coommnn_general_block_reduceILj1024EfifEEvT1_S1_PKS1_PKT0_PT2_ll16rocsparse_order_ ; -- Begin function _ZN9rocsparseL28coommnn_general_block_reduceILj1024EfifEEvT1_S1_PKS1_PKT0_PT2_ll16rocsparse_order_
	.p2align	8
	.type	_ZN9rocsparseL28coommnn_general_block_reduceILj1024EfifEEvT1_S1_PKS1_PKT0_PT2_ll16rocsparse_order_,@function
_ZN9rocsparseL28coommnn_general_block_reduceILj1024EfifEEvT1_S1_PKS1_PKT0_PT2_ll16rocsparse_order_: ; @_ZN9rocsparseL28coommnn_general_block_reduceILj1024EfifEEvT1_S1_PKS1_PKT0_PT2_ll16rocsparse_order_
; %bb.0:
	s_load_b64 s[12:13], s[0:1], 0x0
	s_waitcnt lgkmcnt(0)
	s_cmp_lt_i32 s13, 1
	s_cbranch_scc1 .LBB0_53
; %bb.1:
	s_clause 0x2
	s_load_b64 s[10:11], s[0:1], 0x28
	s_load_b32 s9, s[0:1], 0x30
	s_load_b256 s[16:23], s[0:1], 0x8
	s_mul_i32 s2, s15, s12
	s_mov_b32 s31, s15
	s_add_i32 s30, s2, s14
	v_dual_mov_b32 v4, 0 :: v_dual_lshlrev_b32 v7, 2, v0
	v_mad_u64_u32 v[1:2], null, s30, s13, v[0:1]
	v_cmp_ne_u32_e64 s0, 0, v0
	s_delay_alu instid0(VALU_DEP_3)
	v_or_b32_e32 v8, 0x1000, v7
	v_add_nc_u32_e32 v9, -4, v7
	v_add_nc_u32_e32 v10, 0xffc, v7
	v_cmp_lt_u32_e64 s1, 1, v0
	v_add_nc_u32_e32 v11, -8, v7
	v_mad_u64_u32 v[2:3], null, s31, s13, v[0:1]
	v_add_nc_u32_e32 v12, 0xff8, v7
	v_cmp_lt_u32_e64 s2, 3, v0
	v_add_nc_u32_e32 v13, -16, v7
	s_waitcnt lgkmcnt(0)
	s_cmp_lg_u32 s9, 1
	s_mul_i32 s9, s15, s11
	s_cselect_b32 s24, -1, 0
	s_mul_hi_u32 s11, s15, s10
	s_ashr_i32 s25, s15, 31
	s_ashr_i32 s15, s14, 31
	s_add_i32 s9, s11, s9
	s_mul_i32 s25, s25, s10
	s_lshl_b64 s[26:27], s[14:15], 2
	s_add_i32 s11, s9, s25
	s_mul_i32 s10, s31, s10
	s_add_u32 s25, s20, s26
	s_addc_u32 s26, s21, s27
	s_lshl_b64 s[28:29], s[10:11], 2
	s_mul_i32 s10, s14, s23
	s_mul_hi_u32 s11, s14, s22
	s_add_u32 s25, s25, s28
	s_addc_u32 s26, s26, s29
	s_add_i32 s10, s11, s10
	s_mul_i32 s11, s15, s22
	v_add_nc_u32_e32 v14, 0xff0, v7
	s_add_i32 s11, s10, s11
	s_mul_i32 s10, s14, s22
	v_cmp_lt_u32_e64 s3, 7, v0
	s_lshl_b64 s[14:15], s[10:11], 2
	v_subrev_nc_u32_e32 v15, 32, v7
	v_add_nc_u32_e32 v16, 0xfe0, v7
	v_cmp_lt_u32_e64 s4, 15, v0
	v_subrev_nc_u32_e32 v17, 64, v7
	v_add_nc_u32_e32 v18, 0xfc0, v7
	v_cmp_lt_u32_e64 s5, 31, v0
	v_add_nc_u32_e32 v19, 0xffffff80, v7
	v_add_nc_u32_e32 v20, 0xf80, v7
	v_cmp_lt_u32_e64 s6, 63, v0
	v_add_nc_u32_e32 v21, 0xffffff00, v7
	;; [unrolled: 3-line block ×5, first 2 shown]
	v_add_nc_u32_e32 v28, 0x800, v7
	v_cmp_ne_u32_e64 s10, 0x3ff, v0
	s_add_u32 s11, s20, s14
	s_addc_u32 s15, s21, s15
	s_add_u32 s14, s11, s28
	s_mov_b32 s12, 0
	s_addc_u32 s15, s15, s29
	s_branch .LBB0_4
.LBB0_2:                                ;   in Loop: Header=BB0_4 Depth=1
	global_load_b32 v3, v[5:6], off
	s_waitcnt vmcnt(0) lgkmcnt(0)
	v_add_f32_e32 v3, v29, v3
	global_store_b32 v[5:6], v3, off
.LBB0_3:                                ;   in Loop: Header=BB0_4 Depth=1
	s_or_b32 exec_lo, exec_lo, s11
	s_addk_i32 s12, 0x400
	s_waitcnt_vscnt null, 0x0
	s_cmp_ge_i32 s12, s13
	s_barrier
	buffer_gl0_inv
	s_cbranch_scc1 .LBB0_53
.LBB0_4:                                ; =>This Inner Loop Header: Depth=1
	v_dual_mov_b32 v6, -1 :: v_dual_add_nc_u32 v3, s12, v0
	v_mov_b32_e32 v29, 0
	s_mov_b32 s11, exec_lo
	s_delay_alu instid0(VALU_DEP_2)
	v_cmpx_gt_i32_e64 s13, v3
	s_cbranch_execz .LBB0_6
; %bb.5:                                ;   in Loop: Header=BB0_4 Depth=1
	v_add_nc_u32_e32 v5, s12, v2
	v_add_nc_u32_e32 v29, s12, v1
	s_delay_alu instid0(VALU_DEP_2) | instskip(NEXT) | instid1(VALU_DEP_2)
	v_ashrrev_i32_e32 v6, 31, v5
	v_ashrrev_i32_e32 v30, 31, v29
	s_delay_alu instid0(VALU_DEP_2) | instskip(NEXT) | instid1(VALU_DEP_2)
	v_lshlrev_b64 v[5:6], 2, v[5:6]
	v_lshlrev_b64 v[29:30], 2, v[29:30]
	s_delay_alu instid0(VALU_DEP_2) | instskip(NEXT) | instid1(VALU_DEP_3)
	v_add_co_u32 v5, vcc_lo, s16, v5
	v_add_co_ci_u32_e32 v6, vcc_lo, s17, v6, vcc_lo
	s_delay_alu instid0(VALU_DEP_3) | instskip(NEXT) | instid1(VALU_DEP_4)
	v_add_co_u32 v29, vcc_lo, s18, v29
	v_add_co_ci_u32_e32 v30, vcc_lo, s19, v30, vcc_lo
	global_load_b32 v6, v[5:6], off
	global_load_b32 v29, v[29:30], off
.LBB0_6:                                ;   in Loop: Header=BB0_4 Depth=1
	s_or_b32 exec_lo, exec_lo, s11
	v_mov_b32_e32 v3, 0
	v_mov_b32_e32 v5, 0
	s_waitcnt vmcnt(1)
	ds_store_b32 v7, v6
	s_waitcnt vmcnt(0)
	ds_store_b32 v8, v29
	s_waitcnt lgkmcnt(0)
	s_barrier
	buffer_gl0_inv
	s_and_saveexec_b32 s11, s0
	s_cbranch_execz .LBB0_10
; %bb.7:                                ;   in Loop: Header=BB0_4 Depth=1
	ds_load_2addr_b32 v[5:6], v9 offset1:1
	s_waitcnt lgkmcnt(0)
	v_cmp_eq_u32_e32 vcc_lo, v6, v5
	v_mov_b32_e32 v5, 0
	s_and_saveexec_b32 s20, vcc_lo
	s_cbranch_execz .LBB0_9
; %bb.8:                                ;   in Loop: Header=BB0_4 Depth=1
	ds_load_b32 v5, v10
.LBB0_9:                                ;   in Loop: Header=BB0_4 Depth=1
	s_or_b32 exec_lo, exec_lo, s20
.LBB0_10:                               ;   in Loop: Header=BB0_4 Depth=1
	s_delay_alu instid0(SALU_CYCLE_1)
	s_or_b32 exec_lo, exec_lo, s11
	s_waitcnt lgkmcnt(0)
	s_barrier
	buffer_gl0_inv
	ds_load_b32 v6, v8
	s_waitcnt lgkmcnt(0)
	v_add_f32_e32 v5, v5, v6
	ds_store_b32 v8, v5
	s_waitcnt lgkmcnt(0)
	s_barrier
	buffer_gl0_inv
	s_and_saveexec_b32 s11, s1
	s_cbranch_execz .LBB0_14
; %bb.11:                               ;   in Loop: Header=BB0_4 Depth=1
	ds_load_b32 v3, v7
	ds_load_b32 v5, v11
	s_waitcnt lgkmcnt(0)
	v_cmp_eq_u32_e32 vcc_lo, v3, v5
	v_mov_b32_e32 v3, 0
	s_and_saveexec_b32 s20, vcc_lo
	s_cbranch_execz .LBB0_13
; %bb.12:                               ;   in Loop: Header=BB0_4 Depth=1
	ds_load_b32 v3, v12
.LBB0_13:                               ;   in Loop: Header=BB0_4 Depth=1
	s_or_b32 exec_lo, exec_lo, s20
.LBB0_14:                               ;   in Loop: Header=BB0_4 Depth=1
	s_delay_alu instid0(SALU_CYCLE_1)
	s_or_b32 exec_lo, exec_lo, s11
	s_waitcnt lgkmcnt(0)
	s_barrier
	buffer_gl0_inv
	ds_load_b32 v5, v8
	s_waitcnt lgkmcnt(0)
	v_dual_add_f32 v6, v3, v5 :: v_dual_mov_b32 v3, 0
	v_mov_b32_e32 v5, 0
	ds_store_b32 v8, v6
	s_waitcnt lgkmcnt(0)
	s_barrier
	buffer_gl0_inv
	s_and_saveexec_b32 s11, s2
	s_cbranch_execz .LBB0_18
; %bb.15:                               ;   in Loop: Header=BB0_4 Depth=1
	ds_load_b32 v5, v7
	ds_load_b32 v6, v13
	s_waitcnt lgkmcnt(0)
	v_cmp_eq_u32_e32 vcc_lo, v5, v6
	v_mov_b32_e32 v5, 0
	s_and_saveexec_b32 s20, vcc_lo
	s_cbranch_execz .LBB0_17
; %bb.16:                               ;   in Loop: Header=BB0_4 Depth=1
	ds_load_b32 v5, v14
.LBB0_17:                               ;   in Loop: Header=BB0_4 Depth=1
	s_or_b32 exec_lo, exec_lo, s20
.LBB0_18:                               ;   in Loop: Header=BB0_4 Depth=1
	s_delay_alu instid0(SALU_CYCLE_1)
	s_or_b32 exec_lo, exec_lo, s11
	s_waitcnt lgkmcnt(0)
	s_barrier
	buffer_gl0_inv
	ds_load_b32 v6, v8
	s_waitcnt lgkmcnt(0)
	v_add_f32_e32 v5, v5, v6
	ds_store_b32 v8, v5
	s_waitcnt lgkmcnt(0)
	s_barrier
	buffer_gl0_inv
	s_and_saveexec_b32 s11, s3
	s_cbranch_execz .LBB0_22
; %bb.19:                               ;   in Loop: Header=BB0_4 Depth=1
	ds_load_b32 v3, v7
	ds_load_b32 v5, v15
	s_waitcnt lgkmcnt(0)
	v_cmp_eq_u32_e32 vcc_lo, v3, v5
	v_mov_b32_e32 v3, 0
	s_and_saveexec_b32 s20, vcc_lo
	s_cbranch_execz .LBB0_21
; %bb.20:                               ;   in Loop: Header=BB0_4 Depth=1
	ds_load_b32 v3, v16
.LBB0_21:                               ;   in Loop: Header=BB0_4 Depth=1
	s_or_b32 exec_lo, exec_lo, s20
.LBB0_22:                               ;   in Loop: Header=BB0_4 Depth=1
	s_delay_alu instid0(SALU_CYCLE_1)
	s_or_b32 exec_lo, exec_lo, s11
	s_waitcnt lgkmcnt(0)
	s_barrier
	buffer_gl0_inv
	ds_load_b32 v5, v8
	s_waitcnt lgkmcnt(0)
	v_dual_add_f32 v6, v3, v5 :: v_dual_mov_b32 v3, 0
	v_mov_b32_e32 v5, 0
	ds_store_b32 v8, v6
	s_waitcnt lgkmcnt(0)
	s_barrier
	buffer_gl0_inv
	s_and_saveexec_b32 s11, s4
	s_cbranch_execz .LBB0_26
; %bb.23:                               ;   in Loop: Header=BB0_4 Depth=1
	ds_load_b32 v5, v7
	ds_load_b32 v6, v17
	s_waitcnt lgkmcnt(0)
	v_cmp_eq_u32_e32 vcc_lo, v5, v6
	v_mov_b32_e32 v5, 0
	s_and_saveexec_b32 s20, vcc_lo
	s_cbranch_execz .LBB0_25
; %bb.24:                               ;   in Loop: Header=BB0_4 Depth=1
	ds_load_b32 v5, v18
.LBB0_25:                               ;   in Loop: Header=BB0_4 Depth=1
	s_or_b32 exec_lo, exec_lo, s20
.LBB0_26:                               ;   in Loop: Header=BB0_4 Depth=1
	;; [unrolled: 55-line block ×4, first 2 shown]
	s_delay_alu instid0(SALU_CYCLE_1)
	s_or_b32 exec_lo, exec_lo, s11
	s_waitcnt lgkmcnt(0)
	s_barrier
	buffer_gl0_inv
	ds_load_b32 v6, v8
	s_waitcnt lgkmcnt(0)
	v_add_f32_e32 v5, v5, v6
	ds_store_b32 v8, v5
	s_waitcnt lgkmcnt(0)
	s_barrier
	buffer_gl0_inv
	s_and_saveexec_b32 s11, s9
	s_cbranch_execz .LBB0_46
; %bb.43:                               ;   in Loop: Header=BB0_4 Depth=1
	ds_load_b32 v3, v7
	ds_load_b32 v5, v27
	s_waitcnt lgkmcnt(0)
	v_cmp_eq_u32_e32 vcc_lo, v3, v5
	v_mov_b32_e32 v3, 0
	s_and_saveexec_b32 s20, vcc_lo
	s_cbranch_execz .LBB0_45
; %bb.44:                               ;   in Loop: Header=BB0_4 Depth=1
	ds_load_b32 v3, v28
.LBB0_45:                               ;   in Loop: Header=BB0_4 Depth=1
	s_or_b32 exec_lo, exec_lo, s20
.LBB0_46:                               ;   in Loop: Header=BB0_4 Depth=1
	s_delay_alu instid0(SALU_CYCLE_1)
	s_or_b32 exec_lo, exec_lo, s11
	s_waitcnt lgkmcnt(0)
	s_barrier
	buffer_gl0_inv
	ds_load_b32 v5, v8
	s_waitcnt lgkmcnt(0)
	v_add_f32_e32 v3, v3, v5
	v_mov_b32_e32 v5, -1
	ds_store_b32 v8, v3
	s_waitcnt lgkmcnt(0)
	s_barrier
	buffer_gl0_inv
	ds_load_b32 v3, v7
	s_and_saveexec_b32 s11, s10
	s_cbranch_execz .LBB0_48
; %bb.47:                               ;   in Loop: Header=BB0_4 Depth=1
	ds_load_b32 v5, v7 offset:4
.LBB0_48:                               ;   in Loop: Header=BB0_4 Depth=1
	s_or_b32 exec_lo, exec_lo, s11
	s_waitcnt lgkmcnt(0)
	v_cmp_ne_u32_e32 vcc_lo, v3, v5
	v_cmp_lt_i32_e64 s11, -1, v3
	s_delay_alu instid0(VALU_DEP_1) | instskip(NEXT) | instid1(SALU_CYCLE_1)
	s_and_b32 s20, s11, vcc_lo
	s_and_saveexec_b32 s11, s20
	s_cbranch_execz .LBB0_3
; %bb.49:                               ;   in Loop: Header=BB0_4 Depth=1
	ds_load_b32 v29, v8
	s_and_b32 vcc_lo, exec_lo, s24
	s_cbranch_vccz .LBB0_51
; %bb.50:                               ;   in Loop: Header=BB0_4 Depth=1
	v_mad_u64_u32 v[5:6], null, v3, s22, 0
	s_delay_alu instid0(VALU_DEP_1) | instskip(NEXT) | instid1(VALU_DEP_1)
	v_mad_u64_u32 v[30:31], null, v3, s23, v[6:7]
	v_mov_b32_e32 v6, v30
	s_delay_alu instid0(VALU_DEP_1) | instskip(NEXT) | instid1(VALU_DEP_1)
	v_lshlrev_b64 v[5:6], 2, v[5:6]
	v_add_co_u32 v5, vcc_lo, s25, v5
	s_delay_alu instid0(VALU_DEP_2)
	v_add_co_ci_u32_e32 v6, vcc_lo, s26, v6, vcc_lo
	s_cbranch_execnz .LBB0_2
	s_branch .LBB0_52
.LBB0_51:                               ;   in Loop: Header=BB0_4 Depth=1
                                        ; implicit-def: $vgpr5_vgpr6
.LBB0_52:                               ;   in Loop: Header=BB0_4 Depth=1
	v_lshlrev_b64 v[5:6], 2, v[3:4]
	s_delay_alu instid0(VALU_DEP_1) | instskip(NEXT) | instid1(VALU_DEP_2)
	v_add_co_u32 v5, vcc_lo, s14, v5
	v_add_co_ci_u32_e32 v6, vcc_lo, s15, v6, vcc_lo
	s_branch .LBB0_2
.LBB0_53:
	s_endpgm
	.section	.rodata,"a",@progbits
	.p2align	6, 0x0
	.amdhsa_kernel _ZN9rocsparseL28coommnn_general_block_reduceILj1024EfifEEvT1_S1_PKS1_PKT0_PT2_ll16rocsparse_order_
		.amdhsa_group_segment_fixed_size 8192
		.amdhsa_private_segment_fixed_size 0
		.amdhsa_kernarg_size 52
		.amdhsa_user_sgpr_count 14
		.amdhsa_user_sgpr_dispatch_ptr 0
		.amdhsa_user_sgpr_queue_ptr 0
		.amdhsa_user_sgpr_kernarg_segment_ptr 1
		.amdhsa_user_sgpr_dispatch_id 0
		.amdhsa_user_sgpr_private_segment_size 0
		.amdhsa_wavefront_size32 1
		.amdhsa_uses_dynamic_stack 0
		.amdhsa_enable_private_segment 0
		.amdhsa_system_sgpr_workgroup_id_x 1
		.amdhsa_system_sgpr_workgroup_id_y 0
		.amdhsa_system_sgpr_workgroup_id_z 1
		.amdhsa_system_sgpr_workgroup_info 0
		.amdhsa_system_vgpr_workitem_id 0
		.amdhsa_next_free_vgpr 32
		.amdhsa_next_free_sgpr 32
		.amdhsa_reserve_vcc 1
		.amdhsa_float_round_mode_32 0
		.amdhsa_float_round_mode_16_64 0
		.amdhsa_float_denorm_mode_32 3
		.amdhsa_float_denorm_mode_16_64 3
		.amdhsa_dx10_clamp 1
		.amdhsa_ieee_mode 1
		.amdhsa_fp16_overflow 0
		.amdhsa_workgroup_processor_mode 1
		.amdhsa_memory_ordered 1
		.amdhsa_forward_progress 0
		.amdhsa_shared_vgpr_count 0
		.amdhsa_exception_fp_ieee_invalid_op 0
		.amdhsa_exception_fp_denorm_src 0
		.amdhsa_exception_fp_ieee_div_zero 0
		.amdhsa_exception_fp_ieee_overflow 0
		.amdhsa_exception_fp_ieee_underflow 0
		.amdhsa_exception_fp_ieee_inexact 0
		.amdhsa_exception_int_div_zero 0
	.end_amdhsa_kernel
	.section	.text._ZN9rocsparseL28coommnn_general_block_reduceILj1024EfifEEvT1_S1_PKS1_PKT0_PT2_ll16rocsparse_order_,"axG",@progbits,_ZN9rocsparseL28coommnn_general_block_reduceILj1024EfifEEvT1_S1_PKS1_PKT0_PT2_ll16rocsparse_order_,comdat
.Lfunc_end0:
	.size	_ZN9rocsparseL28coommnn_general_block_reduceILj1024EfifEEvT1_S1_PKS1_PKT0_PT2_ll16rocsparse_order_, .Lfunc_end0-_ZN9rocsparseL28coommnn_general_block_reduceILj1024EfifEEvT1_S1_PKS1_PKT0_PT2_ll16rocsparse_order_
                                        ; -- End function
	.section	.AMDGPU.csdata,"",@progbits
; Kernel info:
; codeLenInByte = 2084
; NumSgprs: 34
; NumVgprs: 32
; ScratchSize: 0
; MemoryBound: 0
; FloatMode: 240
; IeeeMode: 1
; LDSByteSize: 8192 bytes/workgroup (compile time only)
; SGPRBlocks: 4
; VGPRBlocks: 3
; NumSGPRsForWavesPerEU: 34
; NumVGPRsForWavesPerEU: 32
; Occupancy: 16
; WaveLimiterHint : 0
; COMPUTE_PGM_RSRC2:SCRATCH_EN: 0
; COMPUTE_PGM_RSRC2:USER_SGPR: 14
; COMPUTE_PGM_RSRC2:TRAP_HANDLER: 0
; COMPUTE_PGM_RSRC2:TGID_X_EN: 1
; COMPUTE_PGM_RSRC2:TGID_Y_EN: 0
; COMPUTE_PGM_RSRC2:TGID_Z_EN: 1
; COMPUTE_PGM_RSRC2:TIDIG_COMP_CNT: 0
	.section	.text._ZN9rocsparseL28coommnn_general_block_reduceILj1024EflfEEvT1_S1_PKS1_PKT0_PT2_ll16rocsparse_order_,"axG",@progbits,_ZN9rocsparseL28coommnn_general_block_reduceILj1024EflfEEvT1_S1_PKS1_PKT0_PT2_ll16rocsparse_order_,comdat
	.globl	_ZN9rocsparseL28coommnn_general_block_reduceILj1024EflfEEvT1_S1_PKS1_PKT0_PT2_ll16rocsparse_order_ ; -- Begin function _ZN9rocsparseL28coommnn_general_block_reduceILj1024EflfEEvT1_S1_PKS1_PKT0_PT2_ll16rocsparse_order_
	.p2align	8
	.type	_ZN9rocsparseL28coommnn_general_block_reduceILj1024EflfEEvT1_S1_PKS1_PKT0_PT2_ll16rocsparse_order_,@function
_ZN9rocsparseL28coommnn_general_block_reduceILj1024EflfEEvT1_S1_PKS1_PKT0_PT2_ll16rocsparse_order_: ; @_ZN9rocsparseL28coommnn_general_block_reduceILj1024EflfEEvT1_S1_PKS1_PKT0_PT2_ll16rocsparse_order_
; %bb.0:
	s_load_b128 s[24:27], s[0:1], 0x0
	s_waitcnt lgkmcnt(0)
	v_cmp_lt_i64_e64 s2, s[26:27], 1
	s_delay_alu instid0(VALU_DEP_1)
	s_and_b32 vcc_lo, exec_lo, s2
	s_cbranch_vccnz .LBB1_53
; %bb.1:
	s_clause 0x2
	s_load_b256 s[16:23], s[0:1], 0x10
	s_load_b64 s[8:9], s[0:1], 0x30
	s_load_b32 s7, s[0:1], 0x38
	s_mov_b32 s10, s15
	s_mov_b32 s15, 0
	v_lshlrev_b32_e32 v1, 2, v0
	s_lshl_b64 s[12:13], s[14:15], 2
	v_lshlrev_b32_e32 v9, 3, v0
	v_cmp_ne_u32_e64 s0, 0, v0
	v_cmp_lt_u32_e64 s1, 1, v0
	v_or_b32_e32 v10, 0x2000, v1
	v_add_nc_u32_e32 v12, 0x1ffc, v1
	v_add_nc_u32_e32 v14, 0x1ff8, v1
	;; [unrolled: 1-line block ×9, first 2 shown]
	s_waitcnt lgkmcnt(0)
	s_add_u32 s11, s20, s12
	s_addc_u32 s29, s21, s13
	s_ashr_i32 s33, s10, 31
	s_cmp_lg_u32 s7, 1
	s_mul_i32 s7, s10, s9
	s_mul_hi_u32 s9, s10, s8
	s_cselect_b32 s15, -1, 0
	s_add_i32 s7, s9, s7
	s_mul_i32 s9, s33, s8
	s_mul_i32 s8, s10, s8
	s_add_i32 s9, s7, s9
	s_mul_hi_u32 s30, s14, s22
	s_lshl_b64 s[8:9], s[8:9], 2
	v_add_nc_u32_e32 v30, 0x1800, v1
	s_add_u32 s28, s11, s8
	s_mul_i32 s11, s14, s23
	s_addc_u32 s29, s29, s9
	s_add_i32 s31, s30, s11
	s_mul_i32 s30, s14, s22
	v_cmp_lt_u32_e64 s2, 3, v0
	s_lshl_b64 s[30:31], s[30:31], 2
	v_cmp_lt_u32_e64 s3, 7, v0
	s_add_u32 s11, s20, s30
	s_addc_u32 s20, s21, s31
	s_add_u32 s14, s11, s8
	s_mul_hi_u32 s8, s24, s10
	s_mul_i32 s11, s24, s33
	s_addc_u32 s20, s20, s9
	s_add_i32 s9, s8, s11
	s_mul_i32 s11, s25, s10
	s_mul_i32 s24, s24, s10
	s_add_i32 s25, s9, s11
	v_add_nc_u32_e32 v11, -8, v9
	s_lshl_b64 s[24:25], s[24:25], 2
	v_add_nc_u32_e32 v13, -16, v9
	s_add_u32 s11, s24, s12
	s_addc_u32 s12, s25, s13
	s_mul_hi_u32 s13, s26, s11
	s_mul_i32 s12, s26, s12
	v_subrev_nc_u32_e32 v15, 32, v9
	s_add_i32 s12, s13, s12
	s_mul_i32 s13, s27, s11
	s_mul_i32 s11, s26, s11
	s_add_i32 s12, s12, s13
	s_add_u32 s11, s18, s11
	s_mul_hi_u32 s13, s26, s10
	s_mul_i32 s18, s26, s33
	s_addc_u32 s19, s19, s12
	s_add_i32 s12, s13, s18
	s_mul_i32 s13, s27, s10
	v_add_co_u32 v1, s11, s11, v1
	s_add_i32 s13, s12, s13
	s_mul_i32 s12, s26, s10
	v_add_co_ci_u32_e64 v2, null, s19, 0, s11
	s_lshl_b64 s[12:13], s[12:13], 3
	v_subrev_nc_u32_e32 v17, 64, v9
	s_add_u32 s11, s16, s12
	s_addc_u32 s12, s17, s13
	v_add_co_u32 v3, s11, s11, v9
	v_cmp_lt_u32_e64 s4, 15, v0
	v_add_nc_u32_e32 v19, 0xffffff80, v9
	v_cmp_lt_u32_e64 s5, 31, v0
	v_add_nc_u32_e32 v21, 0xffffff00, v9
	;; [unrolled: 2-line block ×6, first 2 shown]
	v_cmp_ne_u32_e64 s10, 0x3ff, v0
	v_add_co_ci_u32_e64 v4, null, s12, 0, s11
	s_mov_b64 s[12:13], 0
	s_branch .LBB1_4
.LBB1_2:                                ;   in Loop: Header=BB1_4 Depth=1
	global_load_b32 v5, v[7:8], off
	s_waitcnt vmcnt(0) lgkmcnt(0)
	v_add_f32_e32 v5, v31, v5
	global_store_b32 v[7:8], v5, off
.LBB1_3:                                ;   in Loop: Header=BB1_4 Depth=1
	s_or_b32 exec_lo, exec_lo, s11
	s_add_u32 s12, s12, 0x400
	s_addc_u32 s13, s13, 0
	v_add_co_u32 v1, vcc_lo, 0x1000, v1
	v_cmp_ge_i64_e64 s11, s[12:13], s[26:27]
	v_add_co_ci_u32_e32 v2, vcc_lo, 0, v2, vcc_lo
	v_add_co_u32 v3, vcc_lo, 0x2000, v3
	v_add_co_ci_u32_e32 v4, vcc_lo, 0, v4, vcc_lo
	s_delay_alu instid0(VALU_DEP_4)
	s_and_b32 vcc_lo, exec_lo, s11
	s_waitcnt_vscnt null, 0x0
	s_barrier
	buffer_gl0_inv
	s_cbranch_vccnz .LBB1_53
.LBB1_4:                                ; =>This Inner Loop Header: Depth=1
	v_add_co_u32 v5, s11, v0, s12
	s_delay_alu instid0(VALU_DEP_1) | instskip(SKIP_1) | instid1(VALU_DEP_2)
	v_add_co_ci_u32_e64 v6, null, 0, s13, s11
	v_mov_b32_e32 v8, 0
	v_cmp_gt_i64_e32 vcc_lo, s[26:27], v[5:6]
	v_mov_b32_e32 v5, -1
	v_mov_b32_e32 v6, -1
	s_and_saveexec_b32 s11, vcc_lo
	s_cbranch_execz .LBB1_6
; %bb.5:                                ;   in Loop: Header=BB1_4 Depth=1
	global_load_b64 v[5:6], v[3:4], off
	global_load_b32 v8, v[1:2], off
.LBB1_6:                                ;   in Loop: Header=BB1_4 Depth=1
	s_or_b32 exec_lo, exec_lo, s11
	v_mov_b32_e32 v7, 0
	s_waitcnt vmcnt(1)
	ds_store_b64 v9, v[5:6]
	s_waitcnt vmcnt(0)
	ds_store_b32 v10, v8
	s_waitcnt lgkmcnt(0)
	s_barrier
	buffer_gl0_inv
	s_and_saveexec_b32 s11, s0
	s_cbranch_execz .LBB1_10
; %bb.7:                                ;   in Loop: Header=BB1_4 Depth=1
	ds_load_2addr_b64 v[5:8], v11 offset1:1
	s_waitcnt lgkmcnt(0)
	v_cmp_eq_u64_e32 vcc_lo, v[7:8], v[5:6]
	v_mov_b32_e32 v7, 0
	s_and_saveexec_b32 s16, vcc_lo
	s_cbranch_execz .LBB1_9
; %bb.8:                                ;   in Loop: Header=BB1_4 Depth=1
	ds_load_b32 v7, v12
.LBB1_9:                                ;   in Loop: Header=BB1_4 Depth=1
	s_or_b32 exec_lo, exec_lo, s16
.LBB1_10:                               ;   in Loop: Header=BB1_4 Depth=1
	s_delay_alu instid0(SALU_CYCLE_1)
	s_or_b32 exec_lo, exec_lo, s11
	s_waitcnt lgkmcnt(0)
	s_barrier
	buffer_gl0_inv
	ds_load_b32 v5, v10
	s_waitcnt lgkmcnt(0)
	v_dual_mov_b32 v6, 0 :: v_dual_add_f32 v7, v7, v5
	v_mov_b32_e32 v5, 0
	ds_store_b32 v10, v7
	s_waitcnt lgkmcnt(0)
	s_barrier
	buffer_gl0_inv
	s_and_saveexec_b32 s11, s1
	s_cbranch_execz .LBB1_14
; %bb.11:                               ;   in Loop: Header=BB1_4 Depth=1
	ds_load_b64 v[6:7], v9
	ds_load_b64 v[31:32], v13
	s_waitcnt lgkmcnt(0)
	v_cmp_eq_u64_e32 vcc_lo, v[6:7], v[31:32]
	v_mov_b32_e32 v6, 0
	s_and_saveexec_b32 s16, vcc_lo
	s_cbranch_execz .LBB1_13
; %bb.12:                               ;   in Loop: Header=BB1_4 Depth=1
	ds_load_b32 v6, v14
.LBB1_13:                               ;   in Loop: Header=BB1_4 Depth=1
	s_or_b32 exec_lo, exec_lo, s16
.LBB1_14:                               ;   in Loop: Header=BB1_4 Depth=1
	s_delay_alu instid0(SALU_CYCLE_1)
	s_or_b32 exec_lo, exec_lo, s11
	s_waitcnt lgkmcnt(0)
	s_barrier
	buffer_gl0_inv
	ds_load_b32 v7, v10
	s_waitcnt lgkmcnt(0)
	v_add_f32_e32 v6, v6, v7
	ds_store_b32 v10, v6
	s_waitcnt lgkmcnt(0)
	s_barrier
	buffer_gl0_inv
	s_and_saveexec_b32 s11, s2
	s_cbranch_execz .LBB1_18
; %bb.15:                               ;   in Loop: Header=BB1_4 Depth=1
	ds_load_b64 v[5:6], v9
	ds_load_b64 v[7:8], v15
	s_waitcnt lgkmcnt(0)
	v_cmp_eq_u64_e32 vcc_lo, v[5:6], v[7:8]
	v_mov_b32_e32 v5, 0
	s_and_saveexec_b32 s16, vcc_lo
	s_cbranch_execz .LBB1_17
; %bb.16:                               ;   in Loop: Header=BB1_4 Depth=1
	ds_load_b32 v5, v16
.LBB1_17:                               ;   in Loop: Header=BB1_4 Depth=1
	s_or_b32 exec_lo, exec_lo, s16
.LBB1_18:                               ;   in Loop: Header=BB1_4 Depth=1
	s_delay_alu instid0(SALU_CYCLE_1)
	s_or_b32 exec_lo, exec_lo, s11
	s_waitcnt lgkmcnt(0)
	s_barrier
	buffer_gl0_inv
	ds_load_b32 v6, v10
	s_waitcnt lgkmcnt(0)
	v_dual_add_f32 v7, v5, v6 :: v_dual_mov_b32 v6, 0
	v_mov_b32_e32 v5, 0
	ds_store_b32 v10, v7
	s_waitcnt lgkmcnt(0)
	s_barrier
	buffer_gl0_inv
	s_and_saveexec_b32 s11, s3
	s_cbranch_execz .LBB1_22
; %bb.19:                               ;   in Loop: Header=BB1_4 Depth=1
	ds_load_b64 v[6:7], v9
	ds_load_b64 v[31:32], v17
	s_waitcnt lgkmcnt(0)
	v_cmp_eq_u64_e32 vcc_lo, v[6:7], v[31:32]
	v_mov_b32_e32 v6, 0
	s_and_saveexec_b32 s16, vcc_lo
	s_cbranch_execz .LBB1_21
; %bb.20:                               ;   in Loop: Header=BB1_4 Depth=1
	ds_load_b32 v6, v18
.LBB1_21:                               ;   in Loop: Header=BB1_4 Depth=1
	s_or_b32 exec_lo, exec_lo, s16
.LBB1_22:                               ;   in Loop: Header=BB1_4 Depth=1
	s_delay_alu instid0(SALU_CYCLE_1)
	s_or_b32 exec_lo, exec_lo, s11
	s_waitcnt lgkmcnt(0)
	s_barrier
	buffer_gl0_inv
	ds_load_b32 v7, v10
	s_waitcnt lgkmcnt(0)
	v_add_f32_e32 v6, v6, v7
	ds_store_b32 v10, v6
	s_waitcnt lgkmcnt(0)
	s_barrier
	buffer_gl0_inv
	s_and_saveexec_b32 s11, s4
	s_cbranch_execz .LBB1_26
; %bb.23:                               ;   in Loop: Header=BB1_4 Depth=1
	ds_load_b64 v[5:6], v9
	ds_load_b64 v[7:8], v19
	s_waitcnt lgkmcnt(0)
	v_cmp_eq_u64_e32 vcc_lo, v[5:6], v[7:8]
	v_mov_b32_e32 v5, 0
	s_and_saveexec_b32 s16, vcc_lo
	s_cbranch_execz .LBB1_25
; %bb.24:                               ;   in Loop: Header=BB1_4 Depth=1
	ds_load_b32 v5, v20
.LBB1_25:                               ;   in Loop: Header=BB1_4 Depth=1
	s_or_b32 exec_lo, exec_lo, s16
.LBB1_26:                               ;   in Loop: Header=BB1_4 Depth=1
	s_delay_alu instid0(SALU_CYCLE_1)
	s_or_b32 exec_lo, exec_lo, s11
	s_waitcnt lgkmcnt(0)
	s_barrier
	buffer_gl0_inv
	ds_load_b32 v6, v10
	s_waitcnt lgkmcnt(0)
	v_dual_add_f32 v7, v5, v6 :: v_dual_mov_b32 v6, 0
	;; [unrolled: 55-line block ×4, first 2 shown]
	ds_store_b32 v10, v6
	s_waitcnt lgkmcnt(0)
	s_barrier
	buffer_gl0_inv
	s_and_saveexec_b32 s11, s9
	s_cbranch_execz .LBB1_46
; %bb.43:                               ;   in Loop: Header=BB1_4 Depth=1
	ds_load_b64 v[5:6], v9
	ds_load_b64 v[7:8], v29
	s_waitcnt lgkmcnt(0)
	v_cmp_eq_u64_e32 vcc_lo, v[5:6], v[7:8]
	v_mov_b32_e32 v5, 0
	s_and_saveexec_b32 s16, vcc_lo
	s_cbranch_execz .LBB1_45
; %bb.44:                               ;   in Loop: Header=BB1_4 Depth=1
	ds_load_b32 v5, v30
.LBB1_45:                               ;   in Loop: Header=BB1_4 Depth=1
	s_or_b32 exec_lo, exec_lo, s16
.LBB1_46:                               ;   in Loop: Header=BB1_4 Depth=1
	s_delay_alu instid0(SALU_CYCLE_1)
	s_or_b32 exec_lo, exec_lo, s11
	s_waitcnt lgkmcnt(0)
	s_barrier
	buffer_gl0_inv
	ds_load_b32 v6, v10
	v_mov_b32_e32 v7, -1
	s_waitcnt lgkmcnt(0)
	v_dual_mov_b32 v8, -1 :: v_dual_add_f32 v5, v5, v6
	ds_store_b32 v10, v5
	s_waitcnt lgkmcnt(0)
	s_barrier
	buffer_gl0_inv
	ds_load_b64 v[5:6], v9
	s_and_saveexec_b32 s11, s10
	s_cbranch_execz .LBB1_48
; %bb.47:                               ;   in Loop: Header=BB1_4 Depth=1
	ds_load_b64 v[7:8], v9 offset:8
.LBB1_48:                               ;   in Loop: Header=BB1_4 Depth=1
	s_or_b32 exec_lo, exec_lo, s11
	s_waitcnt lgkmcnt(0)
	v_cmp_ne_u64_e32 vcc_lo, v[5:6], v[7:8]
	v_cmp_lt_i64_e64 s11, -1, v[5:6]
	s_delay_alu instid0(VALU_DEP_1) | instskip(NEXT) | instid1(SALU_CYCLE_1)
	s_and_b32 s16, s11, vcc_lo
	s_and_saveexec_b32 s11, s16
	s_cbranch_execz .LBB1_3
; %bb.49:                               ;   in Loop: Header=BB1_4 Depth=1
	ds_load_b32 v31, v10
	s_and_b32 vcc_lo, exec_lo, s15
	s_cbranch_vccz .LBB1_51
; %bb.50:                               ;   in Loop: Header=BB1_4 Depth=1
	v_mul_lo_u32 v32, v6, s22
	v_mul_lo_u32 v33, v5, s23
	v_mad_u64_u32 v[7:8], null, v5, s22, 0
	s_delay_alu instid0(VALU_DEP_1) | instskip(NEXT) | instid1(VALU_DEP_1)
	v_add3_u32 v8, v8, v33, v32
	v_lshlrev_b64 v[7:8], 2, v[7:8]
	s_delay_alu instid0(VALU_DEP_1) | instskip(NEXT) | instid1(VALU_DEP_2)
	v_add_co_u32 v7, vcc_lo, s28, v7
	v_add_co_ci_u32_e32 v8, vcc_lo, s29, v8, vcc_lo
	s_cbranch_execnz .LBB1_2
	s_branch .LBB1_52
.LBB1_51:                               ;   in Loop: Header=BB1_4 Depth=1
                                        ; implicit-def: $vgpr7_vgpr8
.LBB1_52:                               ;   in Loop: Header=BB1_4 Depth=1
	v_lshlrev_b64 v[5:6], 2, v[5:6]
	s_delay_alu instid0(VALU_DEP_1) | instskip(NEXT) | instid1(VALU_DEP_2)
	v_add_co_u32 v7, vcc_lo, s14, v5
	v_add_co_ci_u32_e32 v8, vcc_lo, s20, v6, vcc_lo
	s_branch .LBB1_2
.LBB1_53:
	s_endpgm
	.section	.rodata,"a",@progbits
	.p2align	6, 0x0
	.amdhsa_kernel _ZN9rocsparseL28coommnn_general_block_reduceILj1024EflfEEvT1_S1_PKS1_PKT0_PT2_ll16rocsparse_order_
		.amdhsa_group_segment_fixed_size 12288
		.amdhsa_private_segment_fixed_size 0
		.amdhsa_kernarg_size 60
		.amdhsa_user_sgpr_count 14
		.amdhsa_user_sgpr_dispatch_ptr 0
		.amdhsa_user_sgpr_queue_ptr 0
		.amdhsa_user_sgpr_kernarg_segment_ptr 1
		.amdhsa_user_sgpr_dispatch_id 0
		.amdhsa_user_sgpr_private_segment_size 0
		.amdhsa_wavefront_size32 1
		.amdhsa_uses_dynamic_stack 0
		.amdhsa_enable_private_segment 0
		.amdhsa_system_sgpr_workgroup_id_x 1
		.amdhsa_system_sgpr_workgroup_id_y 0
		.amdhsa_system_sgpr_workgroup_id_z 1
		.amdhsa_system_sgpr_workgroup_info 0
		.amdhsa_system_vgpr_workitem_id 0
		.amdhsa_next_free_vgpr 34
		.amdhsa_next_free_sgpr 34
		.amdhsa_reserve_vcc 1
		.amdhsa_float_round_mode_32 0
		.amdhsa_float_round_mode_16_64 0
		.amdhsa_float_denorm_mode_32 3
		.amdhsa_float_denorm_mode_16_64 3
		.amdhsa_dx10_clamp 1
		.amdhsa_ieee_mode 1
		.amdhsa_fp16_overflow 0
		.amdhsa_workgroup_processor_mode 1
		.amdhsa_memory_ordered 1
		.amdhsa_forward_progress 0
		.amdhsa_shared_vgpr_count 0
		.amdhsa_exception_fp_ieee_invalid_op 0
		.amdhsa_exception_fp_denorm_src 0
		.amdhsa_exception_fp_ieee_div_zero 0
		.amdhsa_exception_fp_ieee_overflow 0
		.amdhsa_exception_fp_ieee_underflow 0
		.amdhsa_exception_fp_ieee_inexact 0
		.amdhsa_exception_int_div_zero 0
	.end_amdhsa_kernel
	.section	.text._ZN9rocsparseL28coommnn_general_block_reduceILj1024EflfEEvT1_S1_PKS1_PKT0_PT2_ll16rocsparse_order_,"axG",@progbits,_ZN9rocsparseL28coommnn_general_block_reduceILj1024EflfEEvT1_S1_PKS1_PKT0_PT2_ll16rocsparse_order_,comdat
.Lfunc_end1:
	.size	_ZN9rocsparseL28coommnn_general_block_reduceILj1024EflfEEvT1_S1_PKS1_PKT0_PT2_ll16rocsparse_order_, .Lfunc_end1-_ZN9rocsparseL28coommnn_general_block_reduceILj1024EflfEEvT1_S1_PKS1_PKT0_PT2_ll16rocsparse_order_
                                        ; -- End function
	.section	.AMDGPU.csdata,"",@progbits
; Kernel info:
; codeLenInByte = 2204
; NumSgprs: 36
; NumVgprs: 34
; ScratchSize: 0
; MemoryBound: 0
; FloatMode: 240
; IeeeMode: 1
; LDSByteSize: 12288 bytes/workgroup (compile time only)
; SGPRBlocks: 4
; VGPRBlocks: 4
; NumSGPRsForWavesPerEU: 36
; NumVGPRsForWavesPerEU: 34
; Occupancy: 16
; WaveLimiterHint : 0
; COMPUTE_PGM_RSRC2:SCRATCH_EN: 0
; COMPUTE_PGM_RSRC2:USER_SGPR: 14
; COMPUTE_PGM_RSRC2:TRAP_HANDLER: 0
; COMPUTE_PGM_RSRC2:TGID_X_EN: 1
; COMPUTE_PGM_RSRC2:TGID_Y_EN: 0
; COMPUTE_PGM_RSRC2:TGID_Z_EN: 1
; COMPUTE_PGM_RSRC2:TIDIG_COMP_CNT: 0
	.section	.text._ZN9rocsparseL28coommnn_general_block_reduceILj1024EdidEEvT1_S1_PKS1_PKT0_PT2_ll16rocsparse_order_,"axG",@progbits,_ZN9rocsparseL28coommnn_general_block_reduceILj1024EdidEEvT1_S1_PKS1_PKT0_PT2_ll16rocsparse_order_,comdat
	.globl	_ZN9rocsparseL28coommnn_general_block_reduceILj1024EdidEEvT1_S1_PKS1_PKT0_PT2_ll16rocsparse_order_ ; -- Begin function _ZN9rocsparseL28coommnn_general_block_reduceILj1024EdidEEvT1_S1_PKS1_PKT0_PT2_ll16rocsparse_order_
	.p2align	8
	.type	_ZN9rocsparseL28coommnn_general_block_reduceILj1024EdidEEvT1_S1_PKS1_PKT0_PT2_ll16rocsparse_order_,@function
_ZN9rocsparseL28coommnn_general_block_reduceILj1024EdidEEvT1_S1_PKS1_PKT0_PT2_ll16rocsparse_order_: ; @_ZN9rocsparseL28coommnn_general_block_reduceILj1024EdidEEvT1_S1_PKS1_PKT0_PT2_ll16rocsparse_order_
; %bb.0:
	s_load_b64 s[12:13], s[0:1], 0x0
	s_waitcnt lgkmcnt(0)
	s_cmp_lt_i32 s13, 1
	s_cbranch_scc1 .LBB2_53
; %bb.1:
	s_clause 0x2
	s_load_b256 s[16:23], s[0:1], 0x8
	s_load_b64 s[10:11], s[0:1], 0x28
	s_load_b32 s9, s[0:1], 0x30
	s_mul_i32 s0, s15, s12
	v_dual_mov_b32 v4, 0 :: v_dual_lshlrev_b32 v1, 2, v0
	s_add_i32 s30, s0, s14
	s_mov_b32 s31, s15
	v_lshlrev_b32_e32 v10, 3, v0
	s_delay_alu instid0(VALU_DEP_2)
	v_or_b32_e32 v9, 0x2000, v1
	v_add_nc_u32_e32 v11, 0x1ffc, v1
	v_add_nc_u32_e32 v13, 0x1ff8, v1
	v_add_nc_u32_e32 v15, 0x1ff0, v1
	v_add_nc_u32_e32 v17, 0x1fe0, v1
	v_add_nc_u32_e32 v19, 0x1fc0, v1
	v_add_nc_u32_e32 v21, 0x1f80, v1
	v_add_nc_u32_e32 v23, 0x1f00, v1
	v_add_nc_u32_e32 v25, 0x1e00, v1
	v_add_nc_u32_e32 v27, 0x1c00, v1
	v_add_nc_u32_e32 v29, 0x1800, v1
	v_mad_u64_u32 v[1:2], null, s30, s13, v[0:1]
	s_waitcnt lgkmcnt(0)
	s_cmp_lg_u32 s9, 1
	s_mul_i32 s9, s15, s11
	s_cselect_b32 s24, -1, 0
	s_mul_hi_u32 s11, s15, s10
	s_ashr_i32 s25, s15, 31
	s_ashr_i32 s15, s14, 31
	s_add_i32 s9, s11, s9
	s_mul_i32 s25, s25, s10
	s_lshl_b64 s[26:27], s[14:15], 3
	s_add_i32 s11, s9, s25
	s_mul_i32 s10, s31, s10
	s_add_u32 s25, s20, s26
	s_addc_u32 s26, s21, s27
	s_lshl_b64 s[28:29], s[10:11], 3
	s_mul_i32 s10, s14, s23
	s_mul_hi_u32 s11, s14, s22
	s_add_u32 s25, s25, s28
	s_addc_u32 s26, s26, s29
	s_add_i32 s10, s11, s10
	s_mul_i32 s11, s15, s22
	v_mad_u64_u32 v[2:3], null, s31, s13, v[0:1]
	s_add_i32 s11, s10, s11
	s_mul_i32 s10, s14, s22
	v_cmp_ne_u32_e64 s0, 0, v0
	s_lshl_b64 s[14:15], s[10:11], 3
	v_add_nc_u32_e32 v12, -8, v10
	v_cmp_lt_u32_e64 s1, 1, v0
	v_add_nc_u32_e32 v14, -16, v10
	v_cmp_lt_u32_e64 s2, 3, v0
	v_subrev_nc_u32_e32 v16, 32, v10
	v_cmp_lt_u32_e64 s3, 7, v0
	v_subrev_nc_u32_e32 v18, 64, v10
	v_cmp_lt_u32_e64 s4, 15, v0
	v_add_nc_u32_e32 v20, 0xffffff80, v10
	v_cmp_lt_u32_e64 s5, 31, v0
	v_add_nc_u32_e32 v22, 0xffffff00, v10
	;; [unrolled: 2-line block ×6, first 2 shown]
	v_cmp_ne_u32_e64 s10, 0x3ff, v0
	s_add_u32 s11, s20, s14
	s_addc_u32 s15, s21, s15
	s_add_u32 s14, s11, s28
	s_mov_b32 s12, 0
	s_addc_u32 s15, s15, s29
	s_branch .LBB2_4
.LBB2_2:                                ;   in Loop: Header=BB2_4 Depth=1
	global_load_b64 v[31:32], v[7:8], off
	s_waitcnt vmcnt(0) lgkmcnt(0)
	v_add_f64 v[5:6], v[5:6], v[31:32]
	global_store_b64 v[7:8], v[5:6], off
.LBB2_3:                                ;   in Loop: Header=BB2_4 Depth=1
	s_or_b32 exec_lo, exec_lo, s11
	s_addk_i32 s12, 0x400
	s_waitcnt_vscnt null, 0x0
	s_cmp_ge_i32 s12, s13
	s_barrier
	buffer_gl0_inv
	s_cbranch_scc1 .LBB2_53
.LBB2_4:                                ; =>This Inner Loop Header: Depth=1
	v_mov_b32_e32 v5, 0
	v_dual_mov_b32 v6, 0 :: v_dual_add_nc_u32 v3, s12, v0
	s_delay_alu instid0(VALU_DEP_1) | instskip(NEXT) | instid1(VALU_DEP_2)
	v_cmp_gt_i32_e32 vcc_lo, s13, v3
	v_dual_mov_b32 v3, -1 :: v_dual_mov_b32 v8, v6
	s_delay_alu instid0(VALU_DEP_4)
	v_mov_b32_e32 v7, v5
	s_and_saveexec_b32 s11, vcc_lo
	s_cbranch_execz .LBB2_6
; %bb.5:                                ;   in Loop: Header=BB2_4 Depth=1
	v_add_nc_u32_e32 v7, s12, v2
	v_add_nc_u32_e32 v31, s12, v1
	s_delay_alu instid0(VALU_DEP_2) | instskip(NEXT) | instid1(VALU_DEP_2)
	v_ashrrev_i32_e32 v8, 31, v7
	v_ashrrev_i32_e32 v32, 31, v31
	s_delay_alu instid0(VALU_DEP_2) | instskip(NEXT) | instid1(VALU_DEP_2)
	v_lshlrev_b64 v[7:8], 2, v[7:8]
	v_lshlrev_b64 v[31:32], 3, v[31:32]
	s_delay_alu instid0(VALU_DEP_2) | instskip(NEXT) | instid1(VALU_DEP_3)
	v_add_co_u32 v7, vcc_lo, s16, v7
	v_add_co_ci_u32_e32 v8, vcc_lo, s17, v8, vcc_lo
	s_delay_alu instid0(VALU_DEP_3) | instskip(NEXT) | instid1(VALU_DEP_4)
	v_add_co_u32 v31, vcc_lo, s18, v31
	v_add_co_ci_u32_e32 v32, vcc_lo, s19, v32, vcc_lo
	global_load_b32 v3, v[7:8], off
	global_load_b64 v[7:8], v[31:32], off
.LBB2_6:                                ;   in Loop: Header=BB2_4 Depth=1
	s_or_b32 exec_lo, exec_lo, s11
	s_waitcnt vmcnt(1)
	ds_store_b32 v9, v3
	s_waitcnt vmcnt(0)
	ds_store_b64 v10, v[7:8]
	s_waitcnt lgkmcnt(0)
	s_barrier
	buffer_gl0_inv
	s_and_saveexec_b32 s11, s0
	s_cbranch_execz .LBB2_10
; %bb.7:                                ;   in Loop: Header=BB2_4 Depth=1
	ds_load_2addr_b32 v[7:8], v11 offset1:1
	v_mov_b32_e32 v5, 0
	v_mov_b32_e32 v6, 0
	s_mov_b32 s20, exec_lo
	s_waitcnt lgkmcnt(0)
	v_cmpx_eq_u32_e64 v8, v7
	s_cbranch_execz .LBB2_9
; %bb.8:                                ;   in Loop: Header=BB2_4 Depth=1
	ds_load_b64 v[5:6], v12
.LBB2_9:                                ;   in Loop: Header=BB2_4 Depth=1
	s_or_b32 exec_lo, exec_lo, s20
.LBB2_10:                               ;   in Loop: Header=BB2_4 Depth=1
	s_delay_alu instid0(SALU_CYCLE_1)
	s_or_b32 exec_lo, exec_lo, s11
	s_waitcnt lgkmcnt(0)
	s_barrier
	buffer_gl0_inv
	ds_load_b64 v[7:8], v10
	s_waitcnt lgkmcnt(0)
	v_add_f64 v[31:32], v[5:6], v[7:8]
	v_mov_b32_e32 v5, 0
	v_mov_b32_e32 v6, 0
	s_delay_alu instid0(VALU_DEP_1)
	v_dual_mov_b32 v8, v6 :: v_dual_mov_b32 v7, v5
	ds_store_b64 v10, v[31:32]
	s_waitcnt lgkmcnt(0)
	s_barrier
	buffer_gl0_inv
	s_and_saveexec_b32 s11, s1
	s_cbranch_execz .LBB2_14
; %bb.11:                               ;   in Loop: Header=BB2_4 Depth=1
	ds_load_b32 v3, v9
	ds_load_b32 v31, v13
	v_mov_b32_e32 v7, 0
	v_mov_b32_e32 v8, 0
	s_mov_b32 s20, exec_lo
	s_waitcnt lgkmcnt(0)
	v_cmpx_eq_u32_e64 v3, v31
	s_cbranch_execz .LBB2_13
; %bb.12:                               ;   in Loop: Header=BB2_4 Depth=1
	ds_load_b64 v[7:8], v14
.LBB2_13:                               ;   in Loop: Header=BB2_4 Depth=1
	s_or_b32 exec_lo, exec_lo, s20
.LBB2_14:                               ;   in Loop: Header=BB2_4 Depth=1
	s_delay_alu instid0(SALU_CYCLE_1)
	s_or_b32 exec_lo, exec_lo, s11
	s_waitcnt lgkmcnt(0)
	s_barrier
	buffer_gl0_inv
	ds_load_b64 v[31:32], v10
	s_waitcnt lgkmcnt(0)
	v_add_f64 v[7:8], v[7:8], v[31:32]
	ds_store_b64 v10, v[7:8]
	s_waitcnt lgkmcnt(0)
	s_barrier
	buffer_gl0_inv
	s_and_saveexec_b32 s11, s2
	s_cbranch_execz .LBB2_18
; %bb.15:                               ;   in Loop: Header=BB2_4 Depth=1
	ds_load_b32 v3, v9
	ds_load_b32 v7, v15
	v_mov_b32_e32 v5, 0
	v_mov_b32_e32 v6, 0
	s_mov_b32 s20, exec_lo
	s_waitcnt lgkmcnt(0)
	v_cmpx_eq_u32_e64 v3, v7
	s_cbranch_execz .LBB2_17
; %bb.16:                               ;   in Loop: Header=BB2_4 Depth=1
	ds_load_b64 v[5:6], v16
.LBB2_17:                               ;   in Loop: Header=BB2_4 Depth=1
	s_or_b32 exec_lo, exec_lo, s20
.LBB2_18:                               ;   in Loop: Header=BB2_4 Depth=1
	s_delay_alu instid0(SALU_CYCLE_1)
	s_or_b32 exec_lo, exec_lo, s11
	s_waitcnt lgkmcnt(0)
	s_barrier
	buffer_gl0_inv
	ds_load_b64 v[7:8], v10
	s_waitcnt lgkmcnt(0)
	v_add_f64 v[31:32], v[5:6], v[7:8]
	v_mov_b32_e32 v5, 0
	v_mov_b32_e32 v6, 0
	s_delay_alu instid0(VALU_DEP_1)
	v_dual_mov_b32 v8, v6 :: v_dual_mov_b32 v7, v5
	ds_store_b64 v10, v[31:32]
	s_waitcnt lgkmcnt(0)
	s_barrier
	buffer_gl0_inv
	s_and_saveexec_b32 s11, s3
	s_cbranch_execz .LBB2_22
; %bb.19:                               ;   in Loop: Header=BB2_4 Depth=1
	ds_load_b32 v3, v9
	ds_load_b32 v31, v17
	v_mov_b32_e32 v7, 0
	v_mov_b32_e32 v8, 0
	s_mov_b32 s20, exec_lo
	s_waitcnt lgkmcnt(0)
	v_cmpx_eq_u32_e64 v3, v31
	s_cbranch_execz .LBB2_21
; %bb.20:                               ;   in Loop: Header=BB2_4 Depth=1
	ds_load_b64 v[7:8], v18
.LBB2_21:                               ;   in Loop: Header=BB2_4 Depth=1
	s_or_b32 exec_lo, exec_lo, s20
.LBB2_22:                               ;   in Loop: Header=BB2_4 Depth=1
	s_delay_alu instid0(SALU_CYCLE_1)
	s_or_b32 exec_lo, exec_lo, s11
	s_waitcnt lgkmcnt(0)
	s_barrier
	buffer_gl0_inv
	ds_load_b64 v[31:32], v10
	s_waitcnt lgkmcnt(0)
	v_add_f64 v[7:8], v[7:8], v[31:32]
	ds_store_b64 v10, v[7:8]
	s_waitcnt lgkmcnt(0)
	s_barrier
	buffer_gl0_inv
	s_and_saveexec_b32 s11, s4
	s_cbranch_execz .LBB2_26
; %bb.23:                               ;   in Loop: Header=BB2_4 Depth=1
	ds_load_b32 v3, v9
	ds_load_b32 v7, v19
	v_mov_b32_e32 v5, 0
	v_mov_b32_e32 v6, 0
	s_mov_b32 s20, exec_lo
	s_waitcnt lgkmcnt(0)
	v_cmpx_eq_u32_e64 v3, v7
	s_cbranch_execz .LBB2_25
; %bb.24:                               ;   in Loop: Header=BB2_4 Depth=1
	ds_load_b64 v[5:6], v20
.LBB2_25:                               ;   in Loop: Header=BB2_4 Depth=1
	s_or_b32 exec_lo, exec_lo, s20
.LBB2_26:                               ;   in Loop: Header=BB2_4 Depth=1
	;; [unrolled: 60-line block ×4, first 2 shown]
	s_delay_alu instid0(SALU_CYCLE_1)
	s_or_b32 exec_lo, exec_lo, s11
	s_waitcnt lgkmcnt(0)
	s_barrier
	buffer_gl0_inv
	ds_load_b64 v[7:8], v10
	s_waitcnt lgkmcnt(0)
	v_add_f64 v[7:8], v[5:6], v[7:8]
	v_mov_b32_e32 v5, 0
	v_mov_b32_e32 v6, 0
	ds_store_b64 v10, v[7:8]
	s_waitcnt lgkmcnt(0)
	s_barrier
	buffer_gl0_inv
	s_and_saveexec_b32 s11, s9
	s_cbranch_execz .LBB2_46
; %bb.43:                               ;   in Loop: Header=BB2_4 Depth=1
	ds_load_b32 v3, v9
	ds_load_b32 v7, v29
	v_mov_b32_e32 v5, 0
	v_mov_b32_e32 v6, 0
	s_mov_b32 s20, exec_lo
	s_waitcnt lgkmcnt(0)
	v_cmpx_eq_u32_e64 v3, v7
	s_cbranch_execz .LBB2_45
; %bb.44:                               ;   in Loop: Header=BB2_4 Depth=1
	ds_load_b64 v[5:6], v30
.LBB2_45:                               ;   in Loop: Header=BB2_4 Depth=1
	s_or_b32 exec_lo, exec_lo, s20
.LBB2_46:                               ;   in Loop: Header=BB2_4 Depth=1
	s_delay_alu instid0(SALU_CYCLE_1)
	s_or_b32 exec_lo, exec_lo, s11
	s_waitcnt lgkmcnt(0)
	s_barrier
	buffer_gl0_inv
	ds_load_b64 v[7:8], v10
	s_waitcnt lgkmcnt(0)
	v_add_f64 v[5:6], v[5:6], v[7:8]
	ds_store_b64 v10, v[5:6]
	s_waitcnt lgkmcnt(0)
	s_barrier
	buffer_gl0_inv
	ds_load_b32 v3, v9
	v_mov_b32_e32 v5, -1
	s_and_saveexec_b32 s11, s10
	s_cbranch_execz .LBB2_48
; %bb.47:                               ;   in Loop: Header=BB2_4 Depth=1
	ds_load_b32 v5, v9 offset:4
.LBB2_48:                               ;   in Loop: Header=BB2_4 Depth=1
	s_or_b32 exec_lo, exec_lo, s11
	s_waitcnt lgkmcnt(0)
	v_cmp_ne_u32_e32 vcc_lo, v3, v5
	v_cmp_lt_i32_e64 s11, -1, v3
	s_delay_alu instid0(VALU_DEP_1) | instskip(NEXT) | instid1(SALU_CYCLE_1)
	s_and_b32 s20, s11, vcc_lo
	s_and_saveexec_b32 s11, s20
	s_cbranch_execz .LBB2_3
; %bb.49:                               ;   in Loop: Header=BB2_4 Depth=1
	ds_load_b64 v[5:6], v10
	s_and_b32 vcc_lo, exec_lo, s24
	s_cbranch_vccz .LBB2_51
; %bb.50:                               ;   in Loop: Header=BB2_4 Depth=1
	v_mad_u64_u32 v[7:8], null, v3, s22, 0
	s_delay_alu instid0(VALU_DEP_1) | instskip(NEXT) | instid1(VALU_DEP_1)
	v_mad_u64_u32 v[31:32], null, v3, s23, v[8:9]
	v_mov_b32_e32 v8, v31
	s_delay_alu instid0(VALU_DEP_1) | instskip(NEXT) | instid1(VALU_DEP_1)
	v_lshlrev_b64 v[7:8], 3, v[7:8]
	v_add_co_u32 v7, vcc_lo, s25, v7
	s_delay_alu instid0(VALU_DEP_2)
	v_add_co_ci_u32_e32 v8, vcc_lo, s26, v8, vcc_lo
	s_cbranch_execnz .LBB2_2
	s_branch .LBB2_52
.LBB2_51:                               ;   in Loop: Header=BB2_4 Depth=1
                                        ; implicit-def: $vgpr7_vgpr8
.LBB2_52:                               ;   in Loop: Header=BB2_4 Depth=1
	v_lshlrev_b64 v[7:8], 3, v[3:4]
	s_delay_alu instid0(VALU_DEP_1) | instskip(NEXT) | instid1(VALU_DEP_2)
	v_add_co_u32 v7, vcc_lo, s14, v7
	v_add_co_ci_u32_e32 v8, vcc_lo, s15, v8, vcc_lo
	s_branch .LBB2_2
.LBB2_53:
	s_endpgm
	.section	.rodata,"a",@progbits
	.p2align	6, 0x0
	.amdhsa_kernel _ZN9rocsparseL28coommnn_general_block_reduceILj1024EdidEEvT1_S1_PKS1_PKT0_PT2_ll16rocsparse_order_
		.amdhsa_group_segment_fixed_size 12288
		.amdhsa_private_segment_fixed_size 0
		.amdhsa_kernarg_size 52
		.amdhsa_user_sgpr_count 14
		.amdhsa_user_sgpr_dispatch_ptr 0
		.amdhsa_user_sgpr_queue_ptr 0
		.amdhsa_user_sgpr_kernarg_segment_ptr 1
		.amdhsa_user_sgpr_dispatch_id 0
		.amdhsa_user_sgpr_private_segment_size 0
		.amdhsa_wavefront_size32 1
		.amdhsa_uses_dynamic_stack 0
		.amdhsa_enable_private_segment 0
		.amdhsa_system_sgpr_workgroup_id_x 1
		.amdhsa_system_sgpr_workgroup_id_y 0
		.amdhsa_system_sgpr_workgroup_id_z 1
		.amdhsa_system_sgpr_workgroup_info 0
		.amdhsa_system_vgpr_workitem_id 0
		.amdhsa_next_free_vgpr 33
		.amdhsa_next_free_sgpr 32
		.amdhsa_reserve_vcc 1
		.amdhsa_float_round_mode_32 0
		.amdhsa_float_round_mode_16_64 0
		.amdhsa_float_denorm_mode_32 3
		.amdhsa_float_denorm_mode_16_64 3
		.amdhsa_dx10_clamp 1
		.amdhsa_ieee_mode 1
		.amdhsa_fp16_overflow 0
		.amdhsa_workgroup_processor_mode 1
		.amdhsa_memory_ordered 1
		.amdhsa_forward_progress 0
		.amdhsa_shared_vgpr_count 0
		.amdhsa_exception_fp_ieee_invalid_op 0
		.amdhsa_exception_fp_denorm_src 0
		.amdhsa_exception_fp_ieee_div_zero 0
		.amdhsa_exception_fp_ieee_overflow 0
		.amdhsa_exception_fp_ieee_underflow 0
		.amdhsa_exception_fp_ieee_inexact 0
		.amdhsa_exception_int_div_zero 0
	.end_amdhsa_kernel
	.section	.text._ZN9rocsparseL28coommnn_general_block_reduceILj1024EdidEEvT1_S1_PKS1_PKT0_PT2_ll16rocsparse_order_,"axG",@progbits,_ZN9rocsparseL28coommnn_general_block_reduceILj1024EdidEEvT1_S1_PKS1_PKT0_PT2_ll16rocsparse_order_,comdat
.Lfunc_end2:
	.size	_ZN9rocsparseL28coommnn_general_block_reduceILj1024EdidEEvT1_S1_PKS1_PKT0_PT2_ll16rocsparse_order_, .Lfunc_end2-_ZN9rocsparseL28coommnn_general_block_reduceILj1024EdidEEvT1_S1_PKS1_PKT0_PT2_ll16rocsparse_order_
                                        ; -- End function
	.section	.AMDGPU.csdata,"",@progbits
; Kernel info:
; codeLenInByte = 2276
; NumSgprs: 34
; NumVgprs: 33
; ScratchSize: 0
; MemoryBound: 0
; FloatMode: 240
; IeeeMode: 1
; LDSByteSize: 12288 bytes/workgroup (compile time only)
; SGPRBlocks: 4
; VGPRBlocks: 4
; NumSGPRsForWavesPerEU: 34
; NumVGPRsForWavesPerEU: 33
; Occupancy: 16
; WaveLimiterHint : 0
; COMPUTE_PGM_RSRC2:SCRATCH_EN: 0
; COMPUTE_PGM_RSRC2:USER_SGPR: 14
; COMPUTE_PGM_RSRC2:TRAP_HANDLER: 0
; COMPUTE_PGM_RSRC2:TGID_X_EN: 1
; COMPUTE_PGM_RSRC2:TGID_Y_EN: 0
; COMPUTE_PGM_RSRC2:TGID_Z_EN: 1
; COMPUTE_PGM_RSRC2:TIDIG_COMP_CNT: 0
	.section	.text._ZN9rocsparseL28coommnn_general_block_reduceILj1024EdldEEvT1_S1_PKS1_PKT0_PT2_ll16rocsparse_order_,"axG",@progbits,_ZN9rocsparseL28coommnn_general_block_reduceILj1024EdldEEvT1_S1_PKS1_PKT0_PT2_ll16rocsparse_order_,comdat
	.globl	_ZN9rocsparseL28coommnn_general_block_reduceILj1024EdldEEvT1_S1_PKS1_PKT0_PT2_ll16rocsparse_order_ ; -- Begin function _ZN9rocsparseL28coommnn_general_block_reduceILj1024EdldEEvT1_S1_PKS1_PKT0_PT2_ll16rocsparse_order_
	.p2align	8
	.type	_ZN9rocsparseL28coommnn_general_block_reduceILj1024EdldEEvT1_S1_PKS1_PKT0_PT2_ll16rocsparse_order_,@function
_ZN9rocsparseL28coommnn_general_block_reduceILj1024EdldEEvT1_S1_PKS1_PKT0_PT2_ll16rocsparse_order_: ; @_ZN9rocsparseL28coommnn_general_block_reduceILj1024EdldEEvT1_S1_PKS1_PKT0_PT2_ll16rocsparse_order_
; %bb.0:
	s_load_b128 s[24:27], s[0:1], 0x0
	s_waitcnt lgkmcnt(0)
	v_cmp_lt_i64_e64 s2, s[26:27], 1
	s_delay_alu instid0(VALU_DEP_1)
	s_and_b32 vcc_lo, exec_lo, s2
	s_cbranch_vccnz .LBB3_53
; %bb.1:
	s_clause 0x2
	s_load_b256 s[16:23], s[0:1], 0x10
	s_load_b64 s[8:9], s[0:1], 0x30
	s_load_b32 s7, s[0:1], 0x38
	s_mov_b32 s10, s15
	s_mov_b32 s15, 0
	v_lshlrev_b32_e32 v11, 3, v0
	s_lshl_b64 s[12:13], s[14:15], 3
	v_cmp_ne_u32_e64 s0, 0, v0
	v_cmp_lt_u32_e64 s1, 1, v0
	v_cmp_lt_u32_e64 s2, 3, v0
	v_cmp_lt_u32_e64 s3, 7, v0
	v_or_b32_e32 v12, 0x2000, v11
	v_add_nc_u32_e32 v13, -8, v11
	v_add_nc_u32_e32 v14, 0x1ff8, v11
	v_add_nc_u32_e32 v15, -16, v11
	v_add_nc_u32_e32 v16, 0x1ff0, v11
	v_subrev_nc_u32_e32 v17, 32, v11
	v_add_nc_u32_e32 v18, 0x1fe0, v11
	v_subrev_nc_u32_e32 v19, 64, v11
	v_add_nc_u32_e32 v20, 0x1fc0, v11
	s_waitcnt lgkmcnt(0)
	s_add_u32 s11, s20, s12
	s_addc_u32 s29, s21, s13
	s_ashr_i32 s33, s10, 31
	s_cmp_lg_u32 s7, 1
	s_mul_i32 s7, s10, s9
	s_mul_hi_u32 s9, s10, s8
	s_cselect_b32 s15, -1, 0
	s_add_i32 s7, s9, s7
	s_mul_i32 s9, s33, s8
	s_mul_i32 s8, s10, s8
	s_add_i32 s9, s7, s9
	s_mul_hi_u32 s30, s14, s22
	s_lshl_b64 s[8:9], s[8:9], 3
	v_cmp_lt_u32_e64 s4, 15, v0
	s_add_u32 s28, s11, s8
	s_mul_i32 s11, s14, s23
	s_addc_u32 s29, s29, s9
	s_add_i32 s31, s30, s11
	s_mul_i32 s30, s14, s22
	v_add_nc_u32_e32 v21, 0xffffff80, v11
	s_lshl_b64 s[30:31], s[30:31], 3
	v_add_nc_u32_e32 v22, 0x1f80, v11
	s_add_u32 s11, s20, s30
	s_addc_u32 s20, s21, s31
	s_add_u32 s14, s11, s8
	s_mul_hi_u32 s8, s24, s10
	s_mul_i32 s11, s24, s33
	s_addc_u32 s20, s20, s9
	s_add_i32 s9, s8, s11
	s_mul_i32 s11, s25, s10
	s_mul_i32 s24, s24, s10
	s_add_i32 s25, s9, s11
	v_cmp_lt_u32_e64 s5, 31, v0
	s_lshl_b64 s[24:25], s[24:25], 3
	v_add_nc_u32_e32 v23, 0xffffff00, v11
	s_add_u32 s11, s24, s12
	s_addc_u32 s12, s25, s13
	s_mul_hi_u32 s13, s26, s11
	s_mul_i32 s12, s26, s12
	v_add_nc_u32_e32 v24, 0x1f00, v11
	s_add_i32 s12, s13, s12
	s_mul_i32 s13, s27, s11
	s_mul_i32 s11, s26, s11
	s_add_i32 s12, s12, s13
	s_add_u32 s11, s18, s11
	s_mul_hi_u32 s13, s26, s10
	s_mul_i32 s18, s26, s33
	s_addc_u32 s19, s19, s12
	s_add_i32 s12, s13, s18
	s_mul_i32 s13, s27, s10
	v_add_co_u32 v1, s11, s11, v11
	s_add_i32 s13, s12, s13
	s_mul_i32 s12, s26, s10
	v_add_co_ci_u32_e64 v2, null, s19, 0, s11
	s_lshl_b64 s[12:13], s[12:13], 3
	v_cmp_lt_u32_e64 s6, 63, v0
	s_add_u32 s11, s16, s12
	s_addc_u32 s12, s17, s13
	v_add_co_u32 v3, s11, s11, v11
	v_add_nc_u32_e32 v25, 0xfffffe00, v11
	v_add_nc_u32_e32 v26, 0x1e00, v11
	v_cmp_lt_u32_e64 s7, 0x7f, v0
	v_add_nc_u32_e32 v27, 0xfffffc00, v11
	v_add_nc_u32_e32 v28, 0x1c00, v11
	v_cmp_lt_u32_e64 s8, 0xff, v0
	;; [unrolled: 3-line block ×3, first 2 shown]
	v_add_nc_u32_e32 v31, 0xfffff000, v11
	v_add_nc_u32_e32 v32, 0x1000, v11
	v_cmp_ne_u32_e64 s10, 0x3ff, v0
	v_add_co_ci_u32_e64 v4, null, s12, 0, s11
	s_mov_b64 s[12:13], 0
	s_branch .LBB3_4
.LBB3_2:                                ;   in Loop: Header=BB3_4 Depth=1
	global_load_b64 v[5:6], v[9:10], off
	s_waitcnt vmcnt(0) lgkmcnt(0)
	v_add_f64 v[5:6], v[7:8], v[5:6]
	global_store_b64 v[9:10], v[5:6], off
.LBB3_3:                                ;   in Loop: Header=BB3_4 Depth=1
	s_or_b32 exec_lo, exec_lo, s11
	s_add_u32 s12, s12, 0x400
	s_addc_u32 s13, s13, 0
	v_add_co_u32 v1, vcc_lo, 0x2000, v1
	v_cmp_ge_i64_e64 s11, s[12:13], s[26:27]
	v_add_co_ci_u32_e32 v2, vcc_lo, 0, v2, vcc_lo
	v_add_co_u32 v3, vcc_lo, 0x2000, v3
	v_add_co_ci_u32_e32 v4, vcc_lo, 0, v4, vcc_lo
	s_delay_alu instid0(VALU_DEP_4)
	s_and_b32 vcc_lo, exec_lo, s11
	s_waitcnt_vscnt null, 0x0
	s_barrier
	buffer_gl0_inv
	s_cbranch_vccnz .LBB3_53
.LBB3_4:                                ; =>This Inner Loop Header: Depth=1
	v_add_co_u32 v7, s11, v0, s12
	s_delay_alu instid0(VALU_DEP_1) | instskip(SKIP_2) | instid1(VALU_DEP_3)
	v_add_co_ci_u32_e64 v8, null, 0, s13, s11
	v_mov_b32_e32 v5, 0
	v_mov_b32_e32 v6, 0
	v_cmp_gt_i64_e32 vcc_lo, s[26:27], v[7:8]
	v_mov_b32_e32 v7, -1
	v_mov_b32_e32 v8, -1
	s_delay_alu instid0(VALU_DEP_4)
	v_dual_mov_b32 v10, v6 :: v_dual_mov_b32 v9, v5
	s_and_saveexec_b32 s11, vcc_lo
	s_cbranch_execz .LBB3_6
; %bb.5:                                ;   in Loop: Header=BB3_4 Depth=1
	global_load_b64 v[7:8], v[3:4], off
	global_load_b64 v[9:10], v[1:2], off
.LBB3_6:                                ;   in Loop: Header=BB3_4 Depth=1
	s_or_b32 exec_lo, exec_lo, s11
	s_waitcnt vmcnt(1)
	ds_store_b64 v11, v[7:8]
	s_waitcnt vmcnt(0)
	ds_store_b64 v12, v[9:10]
	s_waitcnt lgkmcnt(0)
	s_barrier
	buffer_gl0_inv
	s_and_saveexec_b32 s11, s0
	s_cbranch_execz .LBB3_10
; %bb.7:                                ;   in Loop: Header=BB3_4 Depth=1
	ds_load_2addr_b64 v[5:8], v13 offset1:1
	s_waitcnt lgkmcnt(0)
	v_cmp_eq_u64_e32 vcc_lo, v[7:8], v[5:6]
	v_mov_b32_e32 v5, 0
	v_mov_b32_e32 v6, 0
	s_and_saveexec_b32 s16, vcc_lo
	s_cbranch_execz .LBB3_9
; %bb.8:                                ;   in Loop: Header=BB3_4 Depth=1
	ds_load_b64 v[5:6], v14
.LBB3_9:                                ;   in Loop: Header=BB3_4 Depth=1
	s_or_b32 exec_lo, exec_lo, s16
.LBB3_10:                               ;   in Loop: Header=BB3_4 Depth=1
	s_delay_alu instid0(SALU_CYCLE_1)
	s_or_b32 exec_lo, exec_lo, s11
	s_waitcnt lgkmcnt(0)
	s_barrier
	buffer_gl0_inv
	ds_load_b64 v[7:8], v12
	s_waitcnt lgkmcnt(0)
	v_add_f64 v[9:10], v[5:6], v[7:8]
	v_mov_b32_e32 v5, 0
	v_mov_b32_e32 v6, 0
	s_delay_alu instid0(VALU_DEP_1)
	v_dual_mov_b32 v8, v6 :: v_dual_mov_b32 v7, v5
	ds_store_b64 v12, v[9:10]
	s_waitcnt lgkmcnt(0)
	s_barrier
	buffer_gl0_inv
	s_and_saveexec_b32 s11, s1
	s_cbranch_execz .LBB3_14
; %bb.11:                               ;   in Loop: Header=BB3_4 Depth=1
	ds_load_b64 v[7:8], v11
	ds_load_b64 v[9:10], v15
	s_waitcnt lgkmcnt(0)
	v_cmp_eq_u64_e32 vcc_lo, v[7:8], v[9:10]
	v_mov_b32_e32 v7, 0
	v_mov_b32_e32 v8, 0
	s_and_saveexec_b32 s16, vcc_lo
	s_cbranch_execz .LBB3_13
; %bb.12:                               ;   in Loop: Header=BB3_4 Depth=1
	ds_load_b64 v[7:8], v16
.LBB3_13:                               ;   in Loop: Header=BB3_4 Depth=1
	s_or_b32 exec_lo, exec_lo, s16
.LBB3_14:                               ;   in Loop: Header=BB3_4 Depth=1
	s_delay_alu instid0(SALU_CYCLE_1)
	s_or_b32 exec_lo, exec_lo, s11
	s_waitcnt lgkmcnt(0)
	s_barrier
	buffer_gl0_inv
	ds_load_b64 v[9:10], v12
	s_waitcnt lgkmcnt(0)
	v_add_f64 v[7:8], v[7:8], v[9:10]
	ds_store_b64 v12, v[7:8]
	s_waitcnt lgkmcnt(0)
	s_barrier
	buffer_gl0_inv
	s_and_saveexec_b32 s11, s2
	s_cbranch_execz .LBB3_18
; %bb.15:                               ;   in Loop: Header=BB3_4 Depth=1
	ds_load_b64 v[5:6], v11
	ds_load_b64 v[7:8], v17
	s_waitcnt lgkmcnt(0)
	v_cmp_eq_u64_e32 vcc_lo, v[5:6], v[7:8]
	v_mov_b32_e32 v5, 0
	v_mov_b32_e32 v6, 0
	s_and_saveexec_b32 s16, vcc_lo
	s_cbranch_execz .LBB3_17
; %bb.16:                               ;   in Loop: Header=BB3_4 Depth=1
	ds_load_b64 v[5:6], v18
.LBB3_17:                               ;   in Loop: Header=BB3_4 Depth=1
	s_or_b32 exec_lo, exec_lo, s16
.LBB3_18:                               ;   in Loop: Header=BB3_4 Depth=1
	s_delay_alu instid0(SALU_CYCLE_1)
	s_or_b32 exec_lo, exec_lo, s11
	s_waitcnt lgkmcnt(0)
	s_barrier
	buffer_gl0_inv
	ds_load_b64 v[7:8], v12
	s_waitcnt lgkmcnt(0)
	v_add_f64 v[9:10], v[5:6], v[7:8]
	v_mov_b32_e32 v5, 0
	v_mov_b32_e32 v6, 0
	s_delay_alu instid0(VALU_DEP_1)
	v_dual_mov_b32 v8, v6 :: v_dual_mov_b32 v7, v5
	ds_store_b64 v12, v[9:10]
	s_waitcnt lgkmcnt(0)
	s_barrier
	buffer_gl0_inv
	s_and_saveexec_b32 s11, s3
	s_cbranch_execz .LBB3_22
; %bb.19:                               ;   in Loop: Header=BB3_4 Depth=1
	ds_load_b64 v[7:8], v11
	ds_load_b64 v[9:10], v19
	s_waitcnt lgkmcnt(0)
	v_cmp_eq_u64_e32 vcc_lo, v[7:8], v[9:10]
	v_mov_b32_e32 v7, 0
	v_mov_b32_e32 v8, 0
	s_and_saveexec_b32 s16, vcc_lo
	s_cbranch_execz .LBB3_21
; %bb.20:                               ;   in Loop: Header=BB3_4 Depth=1
	ds_load_b64 v[7:8], v20
.LBB3_21:                               ;   in Loop: Header=BB3_4 Depth=1
	s_or_b32 exec_lo, exec_lo, s16
.LBB3_22:                               ;   in Loop: Header=BB3_4 Depth=1
	s_delay_alu instid0(SALU_CYCLE_1)
	s_or_b32 exec_lo, exec_lo, s11
	s_waitcnt lgkmcnt(0)
	s_barrier
	buffer_gl0_inv
	ds_load_b64 v[9:10], v12
	s_waitcnt lgkmcnt(0)
	v_add_f64 v[7:8], v[7:8], v[9:10]
	ds_store_b64 v12, v[7:8]
	s_waitcnt lgkmcnt(0)
	s_barrier
	buffer_gl0_inv
	s_and_saveexec_b32 s11, s4
	s_cbranch_execz .LBB3_26
; %bb.23:                               ;   in Loop: Header=BB3_4 Depth=1
	ds_load_b64 v[5:6], v11
	ds_load_b64 v[7:8], v21
	s_waitcnt lgkmcnt(0)
	v_cmp_eq_u64_e32 vcc_lo, v[5:6], v[7:8]
	v_mov_b32_e32 v5, 0
	v_mov_b32_e32 v6, 0
	s_and_saveexec_b32 s16, vcc_lo
	s_cbranch_execz .LBB3_25
; %bb.24:                               ;   in Loop: Header=BB3_4 Depth=1
	ds_load_b64 v[5:6], v22
.LBB3_25:                               ;   in Loop: Header=BB3_4 Depth=1
	s_or_b32 exec_lo, exec_lo, s16
.LBB3_26:                               ;   in Loop: Header=BB3_4 Depth=1
	;; [unrolled: 60-line block ×4, first 2 shown]
	s_delay_alu instid0(SALU_CYCLE_1)
	s_or_b32 exec_lo, exec_lo, s11
	s_waitcnt lgkmcnt(0)
	s_barrier
	buffer_gl0_inv
	ds_load_b64 v[7:8], v12
	s_waitcnt lgkmcnt(0)
	v_add_f64 v[7:8], v[5:6], v[7:8]
	v_mov_b32_e32 v5, 0
	v_mov_b32_e32 v6, 0
	ds_store_b64 v12, v[7:8]
	s_waitcnt lgkmcnt(0)
	s_barrier
	buffer_gl0_inv
	s_and_saveexec_b32 s11, s9
	s_cbranch_execz .LBB3_46
; %bb.43:                               ;   in Loop: Header=BB3_4 Depth=1
	ds_load_b64 v[5:6], v11
	ds_load_b64 v[7:8], v31
	s_waitcnt lgkmcnt(0)
	v_cmp_eq_u64_e32 vcc_lo, v[5:6], v[7:8]
	v_mov_b32_e32 v5, 0
	v_mov_b32_e32 v6, 0
	s_and_saveexec_b32 s16, vcc_lo
	s_cbranch_execz .LBB3_45
; %bb.44:                               ;   in Loop: Header=BB3_4 Depth=1
	ds_load_b64 v[5:6], v32
.LBB3_45:                               ;   in Loop: Header=BB3_4 Depth=1
	s_or_b32 exec_lo, exec_lo, s16
.LBB3_46:                               ;   in Loop: Header=BB3_4 Depth=1
	s_delay_alu instid0(SALU_CYCLE_1)
	s_or_b32 exec_lo, exec_lo, s11
	s_waitcnt lgkmcnt(0)
	s_barrier
	buffer_gl0_inv
	ds_load_b64 v[7:8], v12
	s_waitcnt lgkmcnt(0)
	v_add_f64 v[5:6], v[5:6], v[7:8]
	v_mov_b32_e32 v7, -1
	v_mov_b32_e32 v8, -1
	ds_store_b64 v12, v[5:6]
	s_waitcnt lgkmcnt(0)
	s_barrier
	buffer_gl0_inv
	ds_load_b64 v[5:6], v11
	s_and_saveexec_b32 s11, s10
	s_cbranch_execz .LBB3_48
; %bb.47:                               ;   in Loop: Header=BB3_4 Depth=1
	ds_load_b64 v[7:8], v11 offset:8
.LBB3_48:                               ;   in Loop: Header=BB3_4 Depth=1
	s_or_b32 exec_lo, exec_lo, s11
	s_waitcnt lgkmcnt(0)
	v_cmp_ne_u64_e32 vcc_lo, v[5:6], v[7:8]
	v_cmp_lt_i64_e64 s11, -1, v[5:6]
	s_delay_alu instid0(VALU_DEP_1) | instskip(NEXT) | instid1(SALU_CYCLE_1)
	s_and_b32 s16, s11, vcc_lo
	s_and_saveexec_b32 s11, s16
	s_cbranch_execz .LBB3_3
; %bb.49:                               ;   in Loop: Header=BB3_4 Depth=1
	ds_load_b64 v[7:8], v12
	s_and_b32 vcc_lo, exec_lo, s15
	s_cbranch_vccz .LBB3_51
; %bb.50:                               ;   in Loop: Header=BB3_4 Depth=1
	v_mul_lo_u32 v33, v6, s22
	v_mul_lo_u32 v34, v5, s23
	v_mad_u64_u32 v[9:10], null, v5, s22, 0
	s_delay_alu instid0(VALU_DEP_1) | instskip(NEXT) | instid1(VALU_DEP_1)
	v_add3_u32 v10, v10, v34, v33
	v_lshlrev_b64 v[9:10], 3, v[9:10]
	s_delay_alu instid0(VALU_DEP_1) | instskip(NEXT) | instid1(VALU_DEP_2)
	v_add_co_u32 v9, vcc_lo, s28, v9
	v_add_co_ci_u32_e32 v10, vcc_lo, s29, v10, vcc_lo
	s_cbranch_execnz .LBB3_2
	s_branch .LBB3_52
.LBB3_51:                               ;   in Loop: Header=BB3_4 Depth=1
                                        ; implicit-def: $vgpr9_vgpr10
.LBB3_52:                               ;   in Loop: Header=BB3_4 Depth=1
	v_lshlrev_b64 v[5:6], 3, v[5:6]
	s_delay_alu instid0(VALU_DEP_1) | instskip(NEXT) | instid1(VALU_DEP_2)
	v_add_co_u32 v9, vcc_lo, s14, v5
	v_add_co_ci_u32_e32 v10, vcc_lo, s20, v6, vcc_lo
	s_branch .LBB3_2
.LBB3_53:
	s_endpgm
	.section	.rodata,"a",@progbits
	.p2align	6, 0x0
	.amdhsa_kernel _ZN9rocsparseL28coommnn_general_block_reduceILj1024EdldEEvT1_S1_PKS1_PKT0_PT2_ll16rocsparse_order_
		.amdhsa_group_segment_fixed_size 16384
		.amdhsa_private_segment_fixed_size 0
		.amdhsa_kernarg_size 60
		.amdhsa_user_sgpr_count 14
		.amdhsa_user_sgpr_dispatch_ptr 0
		.amdhsa_user_sgpr_queue_ptr 0
		.amdhsa_user_sgpr_kernarg_segment_ptr 1
		.amdhsa_user_sgpr_dispatch_id 0
		.amdhsa_user_sgpr_private_segment_size 0
		.amdhsa_wavefront_size32 1
		.amdhsa_uses_dynamic_stack 0
		.amdhsa_enable_private_segment 0
		.amdhsa_system_sgpr_workgroup_id_x 1
		.amdhsa_system_sgpr_workgroup_id_y 0
		.amdhsa_system_sgpr_workgroup_id_z 1
		.amdhsa_system_sgpr_workgroup_info 0
		.amdhsa_system_vgpr_workitem_id 0
		.amdhsa_next_free_vgpr 35
		.amdhsa_next_free_sgpr 34
		.amdhsa_reserve_vcc 1
		.amdhsa_float_round_mode_32 0
		.amdhsa_float_round_mode_16_64 0
		.amdhsa_float_denorm_mode_32 3
		.amdhsa_float_denorm_mode_16_64 3
		.amdhsa_dx10_clamp 1
		.amdhsa_ieee_mode 1
		.amdhsa_fp16_overflow 0
		.amdhsa_workgroup_processor_mode 1
		.amdhsa_memory_ordered 1
		.amdhsa_forward_progress 0
		.amdhsa_shared_vgpr_count 0
		.amdhsa_exception_fp_ieee_invalid_op 0
		.amdhsa_exception_fp_denorm_src 0
		.amdhsa_exception_fp_ieee_div_zero 0
		.amdhsa_exception_fp_ieee_overflow 0
		.amdhsa_exception_fp_ieee_underflow 0
		.amdhsa_exception_fp_ieee_inexact 0
		.amdhsa_exception_int_div_zero 0
	.end_amdhsa_kernel
	.section	.text._ZN9rocsparseL28coommnn_general_block_reduceILj1024EdldEEvT1_S1_PKS1_PKT0_PT2_ll16rocsparse_order_,"axG",@progbits,_ZN9rocsparseL28coommnn_general_block_reduceILj1024EdldEEvT1_S1_PKS1_PKT0_PT2_ll16rocsparse_order_,comdat
.Lfunc_end3:
	.size	_ZN9rocsparseL28coommnn_general_block_reduceILj1024EdldEEvT1_S1_PKS1_PKT0_PT2_ll16rocsparse_order_, .Lfunc_end3-_ZN9rocsparseL28coommnn_general_block_reduceILj1024EdldEEvT1_S1_PKS1_PKT0_PT2_ll16rocsparse_order_
                                        ; -- End function
	.section	.AMDGPU.csdata,"",@progbits
; Kernel info:
; codeLenInByte = 2348
; NumSgprs: 36
; NumVgprs: 35
; ScratchSize: 0
; MemoryBound: 0
; FloatMode: 240
; IeeeMode: 1
; LDSByteSize: 16384 bytes/workgroup (compile time only)
; SGPRBlocks: 4
; VGPRBlocks: 4
; NumSGPRsForWavesPerEU: 36
; NumVGPRsForWavesPerEU: 35
; Occupancy: 16
; WaveLimiterHint : 0
; COMPUTE_PGM_RSRC2:SCRATCH_EN: 0
; COMPUTE_PGM_RSRC2:USER_SGPR: 14
; COMPUTE_PGM_RSRC2:TRAP_HANDLER: 0
; COMPUTE_PGM_RSRC2:TGID_X_EN: 1
; COMPUTE_PGM_RSRC2:TGID_Y_EN: 0
; COMPUTE_PGM_RSRC2:TGID_Z_EN: 1
; COMPUTE_PGM_RSRC2:TIDIG_COMP_CNT: 0
	.section	.text._ZN9rocsparseL28coommnn_general_block_reduceILj1024E21rocsparse_complex_numIfEiS2_EEvT1_S3_PKS3_PKT0_PT2_ll16rocsparse_order_,"axG",@progbits,_ZN9rocsparseL28coommnn_general_block_reduceILj1024E21rocsparse_complex_numIfEiS2_EEvT1_S3_PKS3_PKT0_PT2_ll16rocsparse_order_,comdat
	.globl	_ZN9rocsparseL28coommnn_general_block_reduceILj1024E21rocsparse_complex_numIfEiS2_EEvT1_S3_PKS3_PKT0_PT2_ll16rocsparse_order_ ; -- Begin function _ZN9rocsparseL28coommnn_general_block_reduceILj1024E21rocsparse_complex_numIfEiS2_EEvT1_S3_PKS3_PKT0_PT2_ll16rocsparse_order_
	.p2align	8
	.type	_ZN9rocsparseL28coommnn_general_block_reduceILj1024E21rocsparse_complex_numIfEiS2_EEvT1_S3_PKS3_PKT0_PT2_ll16rocsparse_order_,@function
_ZN9rocsparseL28coommnn_general_block_reduceILj1024E21rocsparse_complex_numIfEiS2_EEvT1_S3_PKS3_PKT0_PT2_ll16rocsparse_order_: ; @_ZN9rocsparseL28coommnn_general_block_reduceILj1024E21rocsparse_complex_numIfEiS2_EEvT1_S3_PKS3_PKT0_PT2_ll16rocsparse_order_
; %bb.0:
	s_load_b64 s[12:13], s[0:1], 0x0
	s_waitcnt lgkmcnt(0)
	s_cmp_lt_i32 s13, 1
	s_cbranch_scc1 .LBB4_53
; %bb.1:
	s_clause 0x2
	s_load_b256 s[16:23], s[0:1], 0x8
	s_load_b64 s[10:11], s[0:1], 0x28
	s_load_b32 s9, s[0:1], 0x30
	s_mul_i32 s0, s15, s12
	v_dual_mov_b32 v4, 0 :: v_dual_lshlrev_b32 v1, 2, v0
	s_add_i32 s30, s0, s14
	s_mov_b32 s31, s15
	v_lshlrev_b32_e32 v12, 3, v0
	s_delay_alu instid0(VALU_DEP_2)
	v_or_b32_e32 v11, 0x2000, v1
	v_add_nc_u32_e32 v13, 0x1ffc, v1
	v_add_nc_u32_e32 v15, 0x1ff8, v1
	;; [unrolled: 1-line block ×10, first 2 shown]
	v_mad_u64_u32 v[1:2], null, s30, s13, v[0:1]
	s_waitcnt lgkmcnt(0)
	s_cmp_lg_u32 s9, 1
	s_mul_i32 s9, s15, s11
	s_cselect_b32 s24, -1, 0
	s_mul_hi_u32 s11, s15, s10
	s_ashr_i32 s25, s15, 31
	s_ashr_i32 s15, s14, 31
	s_add_i32 s9, s11, s9
	s_mul_i32 s25, s25, s10
	s_lshl_b64 s[26:27], s[14:15], 3
	s_add_i32 s11, s9, s25
	s_mul_i32 s10, s31, s10
	s_add_u32 s25, s20, s26
	s_addc_u32 s26, s21, s27
	s_lshl_b64 s[28:29], s[10:11], 3
	s_mul_i32 s10, s14, s23
	s_mul_hi_u32 s11, s14, s22
	s_add_u32 s25, s25, s28
	s_addc_u32 s26, s26, s29
	s_add_i32 s10, s11, s10
	s_mul_i32 s11, s15, s22
	v_mad_u64_u32 v[2:3], null, s31, s13, v[0:1]
	s_add_i32 s11, s10, s11
	s_mul_i32 s10, s14, s22
	v_cmp_ne_u32_e64 s0, 0, v0
	s_lshl_b64 s[14:15], s[10:11], 3
	v_add_nc_u32_e32 v14, -8, v12
	v_cmp_lt_u32_e64 s1, 1, v0
	v_add_nc_u32_e32 v16, -16, v12
	v_cmp_lt_u32_e64 s2, 3, v0
	v_subrev_nc_u32_e32 v18, 32, v12
	v_cmp_lt_u32_e64 s3, 7, v0
	v_subrev_nc_u32_e32 v20, 64, v12
	v_cmp_lt_u32_e64 s4, 15, v0
	v_add_nc_u32_e32 v22, 0xffffff80, v12
	v_cmp_lt_u32_e64 s5, 31, v0
	v_add_nc_u32_e32 v24, 0xffffff00, v12
	;; [unrolled: 2-line block ×6, first 2 shown]
	v_cmp_ne_u32_e64 s10, 0x3ff, v0
	s_add_u32 s11, s20, s14
	s_addc_u32 s15, s21, s15
	s_add_u32 s14, s11, s28
	s_mov_b32 s12, 0
	s_addc_u32 s15, s15, s29
	s_branch .LBB4_4
.LBB4_2:                                ;   in Loop: Header=BB4_4 Depth=1
	global_load_b64 v[7:8], v[5:6], off
	ds_load_b64 v[9:10], v12
	s_waitcnt vmcnt(0) lgkmcnt(0)
	v_dual_add_f32 v7, v9, v7 :: v_dual_add_f32 v8, v10, v8
	global_store_b64 v[5:6], v[7:8], off
.LBB4_3:                                ;   in Loop: Header=BB4_4 Depth=1
	s_or_b32 exec_lo, exec_lo, s11
	s_addk_i32 s12, 0x400
	s_waitcnt_vscnt null, 0x0
	s_cmp_ge_i32 s12, s13
	s_barrier
	buffer_gl0_inv
	s_cbranch_scc1 .LBB4_53
.LBB4_4:                                ; =>This Inner Loop Header: Depth=1
	v_dual_mov_b32 v10, 0 :: v_dual_add_nc_u32 v5, s12, v0
	v_mov_b32_e32 v3, -1
	v_mov_b32_e32 v9, 0
	s_mov_b32 s11, exec_lo
	s_delay_alu instid0(VALU_DEP_3)
	v_cmpx_gt_i32_e64 s13, v5
	s_cbranch_execz .LBB4_6
; %bb.5:                                ;   in Loop: Header=BB4_4 Depth=1
	v_add_nc_u32_e32 v5, s12, v2
	v_add_nc_u32_e32 v7, s12, v1
	s_delay_alu instid0(VALU_DEP_2) | instskip(NEXT) | instid1(VALU_DEP_2)
	v_ashrrev_i32_e32 v6, 31, v5
	v_ashrrev_i32_e32 v8, 31, v7
	s_delay_alu instid0(VALU_DEP_2) | instskip(NEXT) | instid1(VALU_DEP_2)
	v_lshlrev_b64 v[5:6], 2, v[5:6]
	v_lshlrev_b64 v[7:8], 3, v[7:8]
	s_delay_alu instid0(VALU_DEP_2) | instskip(NEXT) | instid1(VALU_DEP_3)
	v_add_co_u32 v5, vcc_lo, s16, v5
	v_add_co_ci_u32_e32 v6, vcc_lo, s17, v6, vcc_lo
	s_delay_alu instid0(VALU_DEP_3) | instskip(NEXT) | instid1(VALU_DEP_4)
	v_add_co_u32 v7, vcc_lo, s18, v7
	v_add_co_ci_u32_e32 v8, vcc_lo, s19, v8, vcc_lo
	global_load_b32 v3, v[5:6], off
	global_load_b64 v[9:10], v[7:8], off
.LBB4_6:                                ;   in Loop: Header=BB4_4 Depth=1
	s_or_b32 exec_lo, exec_lo, s11
	v_dual_mov_b32 v6, 0 :: v_dual_mov_b32 v7, 0
	v_mov_b32_e32 v8, 0
	s_waitcnt vmcnt(1)
	ds_store_b32 v11, v3
	s_waitcnt vmcnt(0)
	ds_store_b64 v12, v[9:10]
	s_waitcnt lgkmcnt(0)
	s_barrier
	buffer_gl0_inv
	s_and_saveexec_b32 s11, s0
	s_cbranch_execz .LBB4_10
; %bb.7:                                ;   in Loop: Header=BB4_4 Depth=1
	ds_load_2addr_b32 v[8:9], v13 offset1:1
	v_mov_b32_e32 v7, 0
	s_waitcnt lgkmcnt(0)
	v_cmp_eq_u32_e32 vcc_lo, v9, v8
	v_mov_b32_e32 v8, 0
	s_and_saveexec_b32 s20, vcc_lo
	s_cbranch_execz .LBB4_9
; %bb.8:                                ;   in Loop: Header=BB4_4 Depth=1
	ds_load_b64 v[7:8], v14
.LBB4_9:                                ;   in Loop: Header=BB4_4 Depth=1
	s_or_b32 exec_lo, exec_lo, s20
.LBB4_10:                               ;   in Loop: Header=BB4_4 Depth=1
	s_delay_alu instid0(SALU_CYCLE_1)
	s_or_b32 exec_lo, exec_lo, s11
	s_waitcnt lgkmcnt(0)
	s_barrier
	buffer_gl0_inv
	ds_load_b64 v[9:10], v12
	v_mov_b32_e32 v5, 0
	s_waitcnt lgkmcnt(0)
	v_dual_add_f32 v7, v7, v9 :: v_dual_add_f32 v8, v8, v10
	ds_store_b64 v12, v[7:8]
	s_waitcnt lgkmcnt(0)
	s_barrier
	buffer_gl0_inv
	s_and_saveexec_b32 s11, s1
	s_cbranch_execz .LBB4_14
; %bb.11:                               ;   in Loop: Header=BB4_4 Depth=1
	ds_load_b32 v3, v11
	ds_load_b32 v6, v15
	v_mov_b32_e32 v5, 0
	s_waitcnt lgkmcnt(0)
	v_cmp_eq_u32_e32 vcc_lo, v3, v6
	v_mov_b32_e32 v6, 0
	s_and_saveexec_b32 s20, vcc_lo
	s_cbranch_execz .LBB4_13
; %bb.12:                               ;   in Loop: Header=BB4_4 Depth=1
	ds_load_b64 v[5:6], v16
.LBB4_13:                               ;   in Loop: Header=BB4_4 Depth=1
	s_or_b32 exec_lo, exec_lo, s20
.LBB4_14:                               ;   in Loop: Header=BB4_4 Depth=1
	s_delay_alu instid0(SALU_CYCLE_1)
	s_or_b32 exec_lo, exec_lo, s11
	s_waitcnt lgkmcnt(0)
	s_barrier
	buffer_gl0_inv
	ds_load_b64 v[7:8], v12
	s_waitcnt lgkmcnt(0)
	v_dual_add_f32 v9, v5, v7 :: v_dual_add_f32 v10, v6, v8
	v_dual_mov_b32 v6, 0 :: v_dual_mov_b32 v7, 0
	v_mov_b32_e32 v8, 0
	ds_store_b64 v12, v[9:10]
	s_waitcnt lgkmcnt(0)
	s_barrier
	buffer_gl0_inv
	s_and_saveexec_b32 s11, s2
	s_cbranch_execz .LBB4_18
; %bb.15:                               ;   in Loop: Header=BB4_4 Depth=1
	ds_load_b32 v3, v11
	ds_load_b32 v5, v17
	v_dual_mov_b32 v7, 0 :: v_dual_mov_b32 v8, 0
	s_mov_b32 s20, exec_lo
	s_waitcnt lgkmcnt(0)
	v_cmpx_eq_u32_e64 v3, v5
	s_cbranch_execz .LBB4_17
; %bb.16:                               ;   in Loop: Header=BB4_4 Depth=1
	ds_load_b64 v[7:8], v18
.LBB4_17:                               ;   in Loop: Header=BB4_4 Depth=1
	s_or_b32 exec_lo, exec_lo, s20
.LBB4_18:                               ;   in Loop: Header=BB4_4 Depth=1
	s_delay_alu instid0(SALU_CYCLE_1)
	s_or_b32 exec_lo, exec_lo, s11
	s_waitcnt lgkmcnt(0)
	s_barrier
	buffer_gl0_inv
	ds_load_b64 v[9:10], v12
	v_mov_b32_e32 v5, 0
	s_waitcnt lgkmcnt(0)
	v_dual_add_f32 v7, v7, v9 :: v_dual_add_f32 v8, v8, v10
	ds_store_b64 v12, v[7:8]
	s_waitcnt lgkmcnt(0)
	s_barrier
	buffer_gl0_inv
	s_and_saveexec_b32 s11, s3
	s_cbranch_execz .LBB4_22
; %bb.19:                               ;   in Loop: Header=BB4_4 Depth=1
	ds_load_b32 v3, v11
	ds_load_b32 v6, v19
	v_mov_b32_e32 v5, 0
	s_waitcnt lgkmcnt(0)
	v_cmp_eq_u32_e32 vcc_lo, v3, v6
	v_mov_b32_e32 v6, 0
	s_and_saveexec_b32 s20, vcc_lo
	s_cbranch_execz .LBB4_21
; %bb.20:                               ;   in Loop: Header=BB4_4 Depth=1
	ds_load_b64 v[5:6], v20
.LBB4_21:                               ;   in Loop: Header=BB4_4 Depth=1
	s_or_b32 exec_lo, exec_lo, s20
.LBB4_22:                               ;   in Loop: Header=BB4_4 Depth=1
	s_delay_alu instid0(SALU_CYCLE_1)
	s_or_b32 exec_lo, exec_lo, s11
	s_waitcnt lgkmcnt(0)
	s_barrier
	buffer_gl0_inv
	ds_load_b64 v[7:8], v12
	s_waitcnt lgkmcnt(0)
	v_dual_add_f32 v9, v5, v7 :: v_dual_add_f32 v10, v6, v8
	v_dual_mov_b32 v6, 0 :: v_dual_mov_b32 v7, 0
	v_mov_b32_e32 v8, 0
	ds_store_b64 v12, v[9:10]
	s_waitcnt lgkmcnt(0)
	s_barrier
	buffer_gl0_inv
	s_and_saveexec_b32 s11, s4
	s_cbranch_execz .LBB4_26
; %bb.23:                               ;   in Loop: Header=BB4_4 Depth=1
	ds_load_b32 v3, v11
	ds_load_b32 v5, v21
	v_dual_mov_b32 v7, 0 :: v_dual_mov_b32 v8, 0
	s_mov_b32 s20, exec_lo
	s_waitcnt lgkmcnt(0)
	v_cmpx_eq_u32_e64 v3, v5
	s_cbranch_execz .LBB4_25
; %bb.24:                               ;   in Loop: Header=BB4_4 Depth=1
	ds_load_b64 v[7:8], v22
.LBB4_25:                               ;   in Loop: Header=BB4_4 Depth=1
	s_or_b32 exec_lo, exec_lo, s20
.LBB4_26:                               ;   in Loop: Header=BB4_4 Depth=1
	;; [unrolled: 58-line block ×4, first 2 shown]
	s_delay_alu instid0(SALU_CYCLE_1)
	s_or_b32 exec_lo, exec_lo, s11
	s_waitcnt lgkmcnt(0)
	s_barrier
	buffer_gl0_inv
	ds_load_b64 v[9:10], v12
	v_mov_b32_e32 v5, 0
	s_waitcnt lgkmcnt(0)
	v_dual_add_f32 v7, v7, v9 :: v_dual_add_f32 v8, v8, v10
	ds_store_b64 v12, v[7:8]
	s_waitcnt lgkmcnt(0)
	s_barrier
	buffer_gl0_inv
	s_and_saveexec_b32 s11, s9
	s_cbranch_execz .LBB4_46
; %bb.43:                               ;   in Loop: Header=BB4_4 Depth=1
	ds_load_b32 v3, v11
	ds_load_b32 v6, v31
	v_mov_b32_e32 v5, 0
	s_waitcnt lgkmcnt(0)
	v_cmp_eq_u32_e32 vcc_lo, v3, v6
	v_mov_b32_e32 v6, 0
	s_and_saveexec_b32 s20, vcc_lo
	s_cbranch_execz .LBB4_45
; %bb.44:                               ;   in Loop: Header=BB4_4 Depth=1
	ds_load_b64 v[5:6], v32
.LBB4_45:                               ;   in Loop: Header=BB4_4 Depth=1
	s_or_b32 exec_lo, exec_lo, s20
.LBB4_46:                               ;   in Loop: Header=BB4_4 Depth=1
	s_delay_alu instid0(SALU_CYCLE_1)
	s_or_b32 exec_lo, exec_lo, s11
	s_waitcnt lgkmcnt(0)
	s_barrier
	buffer_gl0_inv
	ds_load_b64 v[7:8], v12
	s_waitcnt lgkmcnt(0)
	v_dual_add_f32 v5, v5, v7 :: v_dual_add_f32 v6, v6, v8
	ds_store_b64 v12, v[5:6]
	s_waitcnt lgkmcnt(0)
	s_barrier
	buffer_gl0_inv
	ds_load_b32 v3, v11
	v_mov_b32_e32 v5, -1
	s_and_saveexec_b32 s11, s10
	s_cbranch_execz .LBB4_48
; %bb.47:                               ;   in Loop: Header=BB4_4 Depth=1
	ds_load_b32 v5, v11 offset:4
.LBB4_48:                               ;   in Loop: Header=BB4_4 Depth=1
	s_or_b32 exec_lo, exec_lo, s11
	s_waitcnt lgkmcnt(0)
	v_cmp_ne_u32_e32 vcc_lo, v3, v5
	v_cmp_lt_i32_e64 s11, -1, v3
	s_delay_alu instid0(VALU_DEP_1) | instskip(NEXT) | instid1(SALU_CYCLE_1)
	s_and_b32 s20, s11, vcc_lo
	s_and_saveexec_b32 s11, s20
	s_cbranch_execz .LBB4_3
; %bb.49:                               ;   in Loop: Header=BB4_4 Depth=1
	s_and_b32 vcc_lo, exec_lo, s24
	s_cbranch_vccz .LBB4_51
; %bb.50:                               ;   in Loop: Header=BB4_4 Depth=1
	v_mad_u64_u32 v[5:6], null, v3, s22, 0
	s_delay_alu instid0(VALU_DEP_1) | instskip(NEXT) | instid1(VALU_DEP_1)
	v_mad_u64_u32 v[7:8], null, v3, s23, v[6:7]
	v_mov_b32_e32 v6, v7
	s_delay_alu instid0(VALU_DEP_1) | instskip(NEXT) | instid1(VALU_DEP_1)
	v_lshlrev_b64 v[5:6], 3, v[5:6]
	v_add_co_u32 v5, vcc_lo, s25, v5
	s_delay_alu instid0(VALU_DEP_2)
	v_add_co_ci_u32_e32 v6, vcc_lo, s26, v6, vcc_lo
	s_cbranch_execnz .LBB4_2
	s_branch .LBB4_52
.LBB4_51:                               ;   in Loop: Header=BB4_4 Depth=1
                                        ; implicit-def: $vgpr5_vgpr6
.LBB4_52:                               ;   in Loop: Header=BB4_4 Depth=1
	v_lshlrev_b64 v[5:6], 3, v[3:4]
	s_delay_alu instid0(VALU_DEP_1) | instskip(NEXT) | instid1(VALU_DEP_2)
	v_add_co_u32 v5, vcc_lo, s14, v5
	v_add_co_ci_u32_e32 v6, vcc_lo, s15, v6, vcc_lo
	s_branch .LBB4_2
.LBB4_53:
	s_endpgm
	.section	.rodata,"a",@progbits
	.p2align	6, 0x0
	.amdhsa_kernel _ZN9rocsparseL28coommnn_general_block_reduceILj1024E21rocsparse_complex_numIfEiS2_EEvT1_S3_PKS3_PKT0_PT2_ll16rocsparse_order_
		.amdhsa_group_segment_fixed_size 12288
		.amdhsa_private_segment_fixed_size 0
		.amdhsa_kernarg_size 52
		.amdhsa_user_sgpr_count 14
		.amdhsa_user_sgpr_dispatch_ptr 0
		.amdhsa_user_sgpr_queue_ptr 0
		.amdhsa_user_sgpr_kernarg_segment_ptr 1
		.amdhsa_user_sgpr_dispatch_id 0
		.amdhsa_user_sgpr_private_segment_size 0
		.amdhsa_wavefront_size32 1
		.amdhsa_uses_dynamic_stack 0
		.amdhsa_enable_private_segment 0
		.amdhsa_system_sgpr_workgroup_id_x 1
		.amdhsa_system_sgpr_workgroup_id_y 0
		.amdhsa_system_sgpr_workgroup_id_z 1
		.amdhsa_system_sgpr_workgroup_info 0
		.amdhsa_system_vgpr_workitem_id 0
		.amdhsa_next_free_vgpr 33
		.amdhsa_next_free_sgpr 32
		.amdhsa_reserve_vcc 1
		.amdhsa_float_round_mode_32 0
		.amdhsa_float_round_mode_16_64 0
		.amdhsa_float_denorm_mode_32 3
		.amdhsa_float_denorm_mode_16_64 3
		.amdhsa_dx10_clamp 1
		.amdhsa_ieee_mode 1
		.amdhsa_fp16_overflow 0
		.amdhsa_workgroup_processor_mode 1
		.amdhsa_memory_ordered 1
		.amdhsa_forward_progress 0
		.amdhsa_shared_vgpr_count 0
		.amdhsa_exception_fp_ieee_invalid_op 0
		.amdhsa_exception_fp_denorm_src 0
		.amdhsa_exception_fp_ieee_div_zero 0
		.amdhsa_exception_fp_ieee_overflow 0
		.amdhsa_exception_fp_ieee_underflow 0
		.amdhsa_exception_fp_ieee_inexact 0
		.amdhsa_exception_int_div_zero 0
	.end_amdhsa_kernel
	.section	.text._ZN9rocsparseL28coommnn_general_block_reduceILj1024E21rocsparse_complex_numIfEiS2_EEvT1_S3_PKS3_PKT0_PT2_ll16rocsparse_order_,"axG",@progbits,_ZN9rocsparseL28coommnn_general_block_reduceILj1024E21rocsparse_complex_numIfEiS2_EEvT1_S3_PKS3_PKT0_PT2_ll16rocsparse_order_,comdat
.Lfunc_end4:
	.size	_ZN9rocsparseL28coommnn_general_block_reduceILj1024E21rocsparse_complex_numIfEiS2_EEvT1_S3_PKS3_PKT0_PT2_ll16rocsparse_order_, .Lfunc_end4-_ZN9rocsparseL28coommnn_general_block_reduceILj1024E21rocsparse_complex_numIfEiS2_EEvT1_S3_PKS3_PKT0_PT2_ll16rocsparse_order_
                                        ; -- End function
	.section	.AMDGPU.csdata,"",@progbits
; Kernel info:
; codeLenInByte = 2236
; NumSgprs: 34
; NumVgprs: 33
; ScratchSize: 0
; MemoryBound: 0
; FloatMode: 240
; IeeeMode: 1
; LDSByteSize: 12288 bytes/workgroup (compile time only)
; SGPRBlocks: 4
; VGPRBlocks: 4
; NumSGPRsForWavesPerEU: 34
; NumVGPRsForWavesPerEU: 33
; Occupancy: 16
; WaveLimiterHint : 0
; COMPUTE_PGM_RSRC2:SCRATCH_EN: 0
; COMPUTE_PGM_RSRC2:USER_SGPR: 14
; COMPUTE_PGM_RSRC2:TRAP_HANDLER: 0
; COMPUTE_PGM_RSRC2:TGID_X_EN: 1
; COMPUTE_PGM_RSRC2:TGID_Y_EN: 0
; COMPUTE_PGM_RSRC2:TGID_Z_EN: 1
; COMPUTE_PGM_RSRC2:TIDIG_COMP_CNT: 0
	.section	.text._ZN9rocsparseL28coommnn_general_block_reduceILj1024E21rocsparse_complex_numIfElS2_EEvT1_S3_PKS3_PKT0_PT2_ll16rocsparse_order_,"axG",@progbits,_ZN9rocsparseL28coommnn_general_block_reduceILj1024E21rocsparse_complex_numIfElS2_EEvT1_S3_PKS3_PKT0_PT2_ll16rocsparse_order_,comdat
	.globl	_ZN9rocsparseL28coommnn_general_block_reduceILj1024E21rocsparse_complex_numIfElS2_EEvT1_S3_PKS3_PKT0_PT2_ll16rocsparse_order_ ; -- Begin function _ZN9rocsparseL28coommnn_general_block_reduceILj1024E21rocsparse_complex_numIfElS2_EEvT1_S3_PKS3_PKT0_PT2_ll16rocsparse_order_
	.p2align	8
	.type	_ZN9rocsparseL28coommnn_general_block_reduceILj1024E21rocsparse_complex_numIfElS2_EEvT1_S3_PKS3_PKT0_PT2_ll16rocsparse_order_,@function
_ZN9rocsparseL28coommnn_general_block_reduceILj1024E21rocsparse_complex_numIfElS2_EEvT1_S3_PKS3_PKT0_PT2_ll16rocsparse_order_: ; @_ZN9rocsparseL28coommnn_general_block_reduceILj1024E21rocsparse_complex_numIfElS2_EEvT1_S3_PKS3_PKT0_PT2_ll16rocsparse_order_
; %bb.0:
	s_load_b128 s[24:27], s[0:1], 0x0
	s_waitcnt lgkmcnt(0)
	v_cmp_lt_i64_e64 s2, s[26:27], 1
	s_delay_alu instid0(VALU_DEP_1)
	s_and_b32 vcc_lo, exec_lo, s2
	s_cbranch_vccnz .LBB5_53
; %bb.1:
	s_clause 0x2
	s_load_b256 s[16:23], s[0:1], 0x10
	s_load_b64 s[8:9], s[0:1], 0x30
	s_load_b32 s7, s[0:1], 0x38
	s_mov_b32 s11, s15
	s_mov_b32 s15, 0
	v_lshlrev_b32_e32 v13, 3, v0
	s_lshl_b64 s[12:13], s[14:15], 3
	v_cmp_ne_u32_e64 s0, 0, v0
	v_cmp_lt_u32_e64 s1, 1, v0
	v_cmp_lt_u32_e64 s2, 3, v0
	;; [unrolled: 1-line block ×3, first 2 shown]
	v_or_b32_e32 v14, 0x2000, v13
	v_add_nc_u32_e32 v15, -8, v13
	v_add_nc_u32_e32 v16, 0x1ff8, v13
	v_add_nc_u32_e32 v17, -16, v13
	v_add_nc_u32_e32 v18, 0x1ff0, v13
	v_subrev_nc_u32_e32 v19, 32, v13
	v_add_nc_u32_e32 v20, 0x1fe0, v13
	v_subrev_nc_u32_e32 v21, 64, v13
	v_add_nc_u32_e32 v22, 0x1fc0, v13
	s_waitcnt lgkmcnt(0)
	s_add_u32 s10, s20, s12
	s_addc_u32 s29, s21, s13
	s_ashr_i32 s33, s11, 31
	s_cmp_lg_u32 s7, 1
	s_mul_i32 s7, s11, s9
	s_mul_hi_u32 s9, s11, s8
	s_cselect_b32 s15, -1, 0
	s_add_i32 s7, s9, s7
	s_mul_i32 s9, s33, s8
	s_mul_i32 s8, s11, s8
	s_add_i32 s9, s7, s9
	v_cmp_lt_u32_e64 s4, 15, v0
	s_lshl_b64 s[30:31], s[8:9], 3
	s_mul_i32 s8, s14, s23
	s_mul_hi_u32 s9, s14, s22
	s_add_u32 s28, s10, s30
	s_addc_u32 s29, s29, s31
	s_add_i32 s9, s9, s8
	s_mul_i32 s8, s14, s22
	v_add_nc_u32_e32 v23, 0xffffff80, v13
	s_lshl_b64 s[34:35], s[8:9], 3
	v_add_nc_u32_e32 v24, 0x1f80, v13
	s_add_u32 s9, s20, s34
	s_addc_u32 s10, s21, s35
	s_add_u32 s14, s9, s30
	s_mul_hi_u32 s9, s24, s11
	s_mul_i32 s21, s24, s33
	s_addc_u32 s20, s10, s31
	s_add_i32 s9, s9, s21
	s_mul_i32 s10, s25, s11
	s_mul_i32 s24, s24, s11
	s_add_i32 s25, s9, s10
	v_cmp_lt_u32_e64 s5, 31, v0
	s_lshl_b64 s[24:25], s[24:25], 3
	v_add_nc_u32_e32 v25, 0xffffff00, v13
	s_add_u32 s10, s24, s12
	s_addc_u32 s12, s25, s13
	s_mul_hi_u32 s13, s26, s10
	s_mul_i32 s12, s26, s12
	v_add_nc_u32_e32 v26, 0x1f00, v13
	s_add_i32 s12, s13, s12
	s_mul_i32 s13, s27, s10
	s_mul_i32 s10, s26, s10
	s_add_i32 s12, s12, s13
	s_add_u32 s18, s18, s10
	s_mul_hi_u32 s10, s26, s11
	s_mul_i32 s13, s26, s33
	s_addc_u32 s19, s19, s12
	s_add_i32 s12, s10, s13
	s_mul_i32 s13, s27, s11
	v_cmp_lt_u32_e64 s6, 63, v0
	s_add_i32 s13, s12, s13
	s_mul_i32 s12, s26, s11
	v_add_co_u32 v1, s11, s18, v13
	s_lshl_b64 s[12:13], s[12:13], 3
	v_add_co_ci_u32_e64 v2, null, s19, 0, s11
	s_add_u32 s11, s16, s12
	s_delay_alu instid0(VALU_DEP_2)
	v_add_co_u32 v1, vcc_lo, v1, 4
	s_addc_u32 s12, s17, s13
	v_add_co_u32 v3, s11, s11, v13
	v_add_nc_u32_e32 v27, 0xfffffe00, v13
	v_add_nc_u32_e32 v28, 0x1e00, v13
	v_cmp_lt_u32_e64 s7, 0x7f, v0
	v_add_nc_u32_e32 v29, 0xfffffc00, v13
	v_add_nc_u32_e32 v30, 0x1c00, v13
	v_cmp_lt_u32_e64 s8, 0xff, v0
	;; [unrolled: 3-line block ×3, first 2 shown]
	v_add_nc_u32_e32 v33, 0xfffff000, v13
	v_add_nc_u32_e32 v34, 0x1000, v13
	v_cmp_ne_u32_e64 s10, 0x3ff, v0
	v_add_co_ci_u32_e32 v2, vcc_lo, 0, v2, vcc_lo
	v_add_co_ci_u32_e64 v4, null, s12, 0, s11
	s_mov_b64 s[12:13], 0
	s_branch .LBB5_4
.LBB5_2:                                ;   in Loop: Header=BB5_4 Depth=1
	global_load_b64 v[5:6], v[7:8], off
	ds_load_b64 v[9:10], v14
	s_waitcnt vmcnt(0) lgkmcnt(0)
	v_dual_add_f32 v5, v9, v5 :: v_dual_add_f32 v6, v10, v6
	global_store_b64 v[7:8], v[5:6], off
.LBB5_3:                                ;   in Loop: Header=BB5_4 Depth=1
	s_or_b32 exec_lo, exec_lo, s11
	s_add_u32 s12, s12, 0x400
	s_addc_u32 s13, s13, 0
	v_add_co_u32 v1, vcc_lo, 0x2000, v1
	v_cmp_ge_i64_e64 s11, s[12:13], s[26:27]
	v_add_co_ci_u32_e32 v2, vcc_lo, 0, v2, vcc_lo
	v_add_co_u32 v3, vcc_lo, 0x2000, v3
	v_add_co_ci_u32_e32 v4, vcc_lo, 0, v4, vcc_lo
	s_delay_alu instid0(VALU_DEP_4)
	s_and_b32 vcc_lo, exec_lo, s11
	s_waitcnt_vscnt null, 0x0
	s_barrier
	buffer_gl0_inv
	s_cbranch_vccnz .LBB5_53
.LBB5_4:                                ; =>This Inner Loop Header: Depth=1
	v_add_co_u32 v5, s11, v0, s12
	v_dual_mov_b32 v9, -1 :: v_dual_mov_b32 v12, 0
	v_add_co_ci_u32_e64 v6, null, 0, s13, s11
	v_dual_mov_b32 v10, -1 :: v_dual_mov_b32 v11, 0
	s_mov_b32 s11, exec_lo
	s_delay_alu instid0(VALU_DEP_2)
	v_cmpx_gt_i64_e64 s[26:27], v[5:6]
	s_cbranch_execz .LBB5_6
; %bb.5:                                ;   in Loop: Header=BB5_4 Depth=1
	global_load_b64 v[9:10], v[3:4], off
	global_load_b64 v[11:12], v[1:2], off offset:-4
.LBB5_6:                                ;   in Loop: Header=BB5_4 Depth=1
	s_or_b32 exec_lo, exec_lo, s11
	v_dual_mov_b32 v6, 0 :: v_dual_mov_b32 v7, 0
	v_mov_b32_e32 v8, 0
	s_waitcnt vmcnt(1)
	ds_store_b64 v13, v[9:10]
	s_waitcnt vmcnt(0)
	ds_store_b64 v14, v[11:12]
	s_waitcnt lgkmcnt(0)
	s_barrier
	buffer_gl0_inv
	s_and_saveexec_b32 s11, s0
	s_cbranch_execz .LBB5_10
; %bb.7:                                ;   in Loop: Header=BB5_4 Depth=1
	ds_load_2addr_b64 v[7:10], v15 offset1:1
	s_waitcnt lgkmcnt(0)
	v_cmp_eq_u64_e32 vcc_lo, v[9:10], v[7:8]
	v_dual_mov_b32 v7, 0 :: v_dual_mov_b32 v8, 0
	s_and_saveexec_b32 s16, vcc_lo
	s_cbranch_execz .LBB5_9
; %bb.8:                                ;   in Loop: Header=BB5_4 Depth=1
	ds_load_b64 v[7:8], v16
.LBB5_9:                                ;   in Loop: Header=BB5_4 Depth=1
	s_or_b32 exec_lo, exec_lo, s16
.LBB5_10:                               ;   in Loop: Header=BB5_4 Depth=1
	s_delay_alu instid0(SALU_CYCLE_1)
	s_or_b32 exec_lo, exec_lo, s11
	s_waitcnt lgkmcnt(0)
	s_barrier
	buffer_gl0_inv
	ds_load_b64 v[9:10], v14
	v_mov_b32_e32 v5, 0
	s_waitcnt lgkmcnt(0)
	v_dual_add_f32 v7, v7, v9 :: v_dual_add_f32 v8, v8, v10
	ds_store_b64 v14, v[7:8]
	s_waitcnt lgkmcnt(0)
	s_barrier
	buffer_gl0_inv
	s_and_saveexec_b32 s11, s1
	s_cbranch_execz .LBB5_14
; %bb.11:                               ;   in Loop: Header=BB5_4 Depth=1
	ds_load_b64 v[5:6], v13
	ds_load_b64 v[7:8], v17
	s_waitcnt lgkmcnt(0)
	v_cmp_eq_u64_e32 vcc_lo, v[5:6], v[7:8]
	v_dual_mov_b32 v5, 0 :: v_dual_mov_b32 v6, 0
	s_and_saveexec_b32 s16, vcc_lo
	s_cbranch_execz .LBB5_13
; %bb.12:                               ;   in Loop: Header=BB5_4 Depth=1
	ds_load_b64 v[5:6], v18
.LBB5_13:                               ;   in Loop: Header=BB5_4 Depth=1
	s_or_b32 exec_lo, exec_lo, s16
.LBB5_14:                               ;   in Loop: Header=BB5_4 Depth=1
	s_delay_alu instid0(SALU_CYCLE_1)
	s_or_b32 exec_lo, exec_lo, s11
	s_waitcnt lgkmcnt(0)
	s_barrier
	buffer_gl0_inv
	ds_load_b64 v[7:8], v14
	s_waitcnt lgkmcnt(0)
	v_dual_add_f32 v9, v5, v7 :: v_dual_add_f32 v10, v6, v8
	v_dual_mov_b32 v6, 0 :: v_dual_mov_b32 v7, 0
	v_mov_b32_e32 v8, 0
	ds_store_b64 v14, v[9:10]
	s_waitcnt lgkmcnt(0)
	s_barrier
	buffer_gl0_inv
	s_and_saveexec_b32 s11, s2
	s_cbranch_execz .LBB5_18
; %bb.15:                               ;   in Loop: Header=BB5_4 Depth=1
	ds_load_b64 v[7:8], v13
	ds_load_b64 v[9:10], v19
	s_waitcnt lgkmcnt(0)
	v_cmp_eq_u64_e32 vcc_lo, v[7:8], v[9:10]
	v_dual_mov_b32 v7, 0 :: v_dual_mov_b32 v8, 0
	s_and_saveexec_b32 s16, vcc_lo
	s_cbranch_execz .LBB5_17
; %bb.16:                               ;   in Loop: Header=BB5_4 Depth=1
	ds_load_b64 v[7:8], v20
.LBB5_17:                               ;   in Loop: Header=BB5_4 Depth=1
	s_or_b32 exec_lo, exec_lo, s16
.LBB5_18:                               ;   in Loop: Header=BB5_4 Depth=1
	s_delay_alu instid0(SALU_CYCLE_1)
	s_or_b32 exec_lo, exec_lo, s11
	s_waitcnt lgkmcnt(0)
	s_barrier
	buffer_gl0_inv
	ds_load_b64 v[9:10], v14
	v_mov_b32_e32 v5, 0
	s_waitcnt lgkmcnt(0)
	v_dual_add_f32 v7, v7, v9 :: v_dual_add_f32 v8, v8, v10
	ds_store_b64 v14, v[7:8]
	s_waitcnt lgkmcnt(0)
	s_barrier
	buffer_gl0_inv
	s_and_saveexec_b32 s11, s3
	s_cbranch_execz .LBB5_22
; %bb.19:                               ;   in Loop: Header=BB5_4 Depth=1
	ds_load_b64 v[5:6], v13
	ds_load_b64 v[7:8], v21
	s_waitcnt lgkmcnt(0)
	v_cmp_eq_u64_e32 vcc_lo, v[5:6], v[7:8]
	v_dual_mov_b32 v5, 0 :: v_dual_mov_b32 v6, 0
	s_and_saveexec_b32 s16, vcc_lo
	s_cbranch_execz .LBB5_21
; %bb.20:                               ;   in Loop: Header=BB5_4 Depth=1
	ds_load_b64 v[5:6], v22
.LBB5_21:                               ;   in Loop: Header=BB5_4 Depth=1
	s_or_b32 exec_lo, exec_lo, s16
.LBB5_22:                               ;   in Loop: Header=BB5_4 Depth=1
	s_delay_alu instid0(SALU_CYCLE_1)
	s_or_b32 exec_lo, exec_lo, s11
	s_waitcnt lgkmcnt(0)
	s_barrier
	buffer_gl0_inv
	ds_load_b64 v[7:8], v14
	s_waitcnt lgkmcnt(0)
	v_dual_add_f32 v9, v5, v7 :: v_dual_add_f32 v10, v6, v8
	v_dual_mov_b32 v6, 0 :: v_dual_mov_b32 v7, 0
	v_mov_b32_e32 v8, 0
	ds_store_b64 v14, v[9:10]
	s_waitcnt lgkmcnt(0)
	s_barrier
	buffer_gl0_inv
	s_and_saveexec_b32 s11, s4
	s_cbranch_execz .LBB5_26
; %bb.23:                               ;   in Loop: Header=BB5_4 Depth=1
	ds_load_b64 v[7:8], v13
	ds_load_b64 v[9:10], v23
	s_waitcnt lgkmcnt(0)
	v_cmp_eq_u64_e32 vcc_lo, v[7:8], v[9:10]
	v_dual_mov_b32 v7, 0 :: v_dual_mov_b32 v8, 0
	s_and_saveexec_b32 s16, vcc_lo
	s_cbranch_execz .LBB5_25
; %bb.24:                               ;   in Loop: Header=BB5_4 Depth=1
	ds_load_b64 v[7:8], v24
.LBB5_25:                               ;   in Loop: Header=BB5_4 Depth=1
	s_or_b32 exec_lo, exec_lo, s16
.LBB5_26:                               ;   in Loop: Header=BB5_4 Depth=1
	;; [unrolled: 57-line block ×4, first 2 shown]
	s_delay_alu instid0(SALU_CYCLE_1)
	s_or_b32 exec_lo, exec_lo, s11
	s_waitcnt lgkmcnt(0)
	s_barrier
	buffer_gl0_inv
	ds_load_b64 v[9:10], v14
	v_mov_b32_e32 v5, 0
	s_waitcnt lgkmcnt(0)
	v_dual_add_f32 v7, v7, v9 :: v_dual_add_f32 v8, v8, v10
	ds_store_b64 v14, v[7:8]
	s_waitcnt lgkmcnt(0)
	s_barrier
	buffer_gl0_inv
	s_and_saveexec_b32 s11, s9
	s_cbranch_execz .LBB5_46
; %bb.43:                               ;   in Loop: Header=BB5_4 Depth=1
	ds_load_b64 v[5:6], v13
	ds_load_b64 v[7:8], v33
	s_waitcnt lgkmcnt(0)
	v_cmp_eq_u64_e32 vcc_lo, v[5:6], v[7:8]
	v_dual_mov_b32 v5, 0 :: v_dual_mov_b32 v6, 0
	s_and_saveexec_b32 s16, vcc_lo
	s_cbranch_execz .LBB5_45
; %bb.44:                               ;   in Loop: Header=BB5_4 Depth=1
	ds_load_b64 v[5:6], v34
.LBB5_45:                               ;   in Loop: Header=BB5_4 Depth=1
	s_or_b32 exec_lo, exec_lo, s16
.LBB5_46:                               ;   in Loop: Header=BB5_4 Depth=1
	s_delay_alu instid0(SALU_CYCLE_1)
	s_or_b32 exec_lo, exec_lo, s11
	s_waitcnt lgkmcnt(0)
	s_barrier
	buffer_gl0_inv
	ds_load_b64 v[7:8], v14
	s_waitcnt lgkmcnt(0)
	v_dual_add_f32 v5, v5, v7 :: v_dual_add_f32 v6, v6, v8
	v_mov_b32_e32 v7, -1
	v_mov_b32_e32 v8, -1
	ds_store_b64 v14, v[5:6]
	s_waitcnt lgkmcnt(0)
	s_barrier
	buffer_gl0_inv
	ds_load_b64 v[5:6], v13
	s_and_saveexec_b32 s11, s10
	s_cbranch_execz .LBB5_48
; %bb.47:                               ;   in Loop: Header=BB5_4 Depth=1
	ds_load_b64 v[7:8], v13 offset:8
.LBB5_48:                               ;   in Loop: Header=BB5_4 Depth=1
	s_or_b32 exec_lo, exec_lo, s11
	s_waitcnt lgkmcnt(0)
	v_cmp_ne_u64_e32 vcc_lo, v[5:6], v[7:8]
	v_cmp_lt_i64_e64 s11, -1, v[5:6]
	s_delay_alu instid0(VALU_DEP_1) | instskip(NEXT) | instid1(SALU_CYCLE_1)
	s_and_b32 s16, s11, vcc_lo
	s_and_saveexec_b32 s11, s16
	s_cbranch_execz .LBB5_3
; %bb.49:                               ;   in Loop: Header=BB5_4 Depth=1
	s_and_b32 vcc_lo, exec_lo, s15
	s_cbranch_vccz .LBB5_51
; %bb.50:                               ;   in Loop: Header=BB5_4 Depth=1
	v_mul_lo_u32 v9, v6, s22
	v_mul_lo_u32 v10, v5, s23
	v_mad_u64_u32 v[7:8], null, v5, s22, 0
	s_delay_alu instid0(VALU_DEP_1) | instskip(NEXT) | instid1(VALU_DEP_1)
	v_add3_u32 v8, v8, v10, v9
	v_lshlrev_b64 v[7:8], 3, v[7:8]
	s_delay_alu instid0(VALU_DEP_1) | instskip(NEXT) | instid1(VALU_DEP_2)
	v_add_co_u32 v7, vcc_lo, s28, v7
	v_add_co_ci_u32_e32 v8, vcc_lo, s29, v8, vcc_lo
	s_cbranch_execnz .LBB5_2
	s_branch .LBB5_52
.LBB5_51:                               ;   in Loop: Header=BB5_4 Depth=1
                                        ; implicit-def: $vgpr7_vgpr8
.LBB5_52:                               ;   in Loop: Header=BB5_4 Depth=1
	v_lshlrev_b64 v[5:6], 3, v[5:6]
	s_delay_alu instid0(VALU_DEP_1) | instskip(NEXT) | instid1(VALU_DEP_2)
	v_add_co_u32 v7, vcc_lo, s14, v5
	v_add_co_ci_u32_e32 v8, vcc_lo, s20, v6, vcc_lo
	s_branch .LBB5_2
.LBB5_53:
	s_endpgm
	.section	.rodata,"a",@progbits
	.p2align	6, 0x0
	.amdhsa_kernel _ZN9rocsparseL28coommnn_general_block_reduceILj1024E21rocsparse_complex_numIfElS2_EEvT1_S3_PKS3_PKT0_PT2_ll16rocsparse_order_
		.amdhsa_group_segment_fixed_size 16384
		.amdhsa_private_segment_fixed_size 0
		.amdhsa_kernarg_size 60
		.amdhsa_user_sgpr_count 14
		.amdhsa_user_sgpr_dispatch_ptr 0
		.amdhsa_user_sgpr_queue_ptr 0
		.amdhsa_user_sgpr_kernarg_segment_ptr 1
		.amdhsa_user_sgpr_dispatch_id 0
		.amdhsa_user_sgpr_private_segment_size 0
		.amdhsa_wavefront_size32 1
		.amdhsa_uses_dynamic_stack 0
		.amdhsa_enable_private_segment 0
		.amdhsa_system_sgpr_workgroup_id_x 1
		.amdhsa_system_sgpr_workgroup_id_y 0
		.amdhsa_system_sgpr_workgroup_id_z 1
		.amdhsa_system_sgpr_workgroup_info 0
		.amdhsa_system_vgpr_workitem_id 0
		.amdhsa_next_free_vgpr 35
		.amdhsa_next_free_sgpr 36
		.amdhsa_reserve_vcc 1
		.amdhsa_float_round_mode_32 0
		.amdhsa_float_round_mode_16_64 0
		.amdhsa_float_denorm_mode_32 3
		.amdhsa_float_denorm_mode_16_64 3
		.amdhsa_dx10_clamp 1
		.amdhsa_ieee_mode 1
		.amdhsa_fp16_overflow 0
		.amdhsa_workgroup_processor_mode 1
		.amdhsa_memory_ordered 1
		.amdhsa_forward_progress 0
		.amdhsa_shared_vgpr_count 0
		.amdhsa_exception_fp_ieee_invalid_op 0
		.amdhsa_exception_fp_denorm_src 0
		.amdhsa_exception_fp_ieee_div_zero 0
		.amdhsa_exception_fp_ieee_overflow 0
		.amdhsa_exception_fp_ieee_underflow 0
		.amdhsa_exception_fp_ieee_inexact 0
		.amdhsa_exception_int_div_zero 0
	.end_amdhsa_kernel
	.section	.text._ZN9rocsparseL28coommnn_general_block_reduceILj1024E21rocsparse_complex_numIfElS2_EEvT1_S3_PKS3_PKT0_PT2_ll16rocsparse_order_,"axG",@progbits,_ZN9rocsparseL28coommnn_general_block_reduceILj1024E21rocsparse_complex_numIfElS2_EEvT1_S3_PKS3_PKT0_PT2_ll16rocsparse_order_,comdat
.Lfunc_end5:
	.size	_ZN9rocsparseL28coommnn_general_block_reduceILj1024E21rocsparse_complex_numIfElS2_EEvT1_S3_PKS3_PKT0_PT2_ll16rocsparse_order_, .Lfunc_end5-_ZN9rocsparseL28coommnn_general_block_reduceILj1024E21rocsparse_complex_numIfElS2_EEvT1_S3_PKS3_PKT0_PT2_ll16rocsparse_order_
                                        ; -- End function
	.section	.AMDGPU.csdata,"",@progbits
; Kernel info:
; codeLenInByte = 2348
; NumSgprs: 38
; NumVgprs: 35
; ScratchSize: 0
; MemoryBound: 0
; FloatMode: 240
; IeeeMode: 1
; LDSByteSize: 16384 bytes/workgroup (compile time only)
; SGPRBlocks: 4
; VGPRBlocks: 4
; NumSGPRsForWavesPerEU: 38
; NumVGPRsForWavesPerEU: 35
; Occupancy: 16
; WaveLimiterHint : 0
; COMPUTE_PGM_RSRC2:SCRATCH_EN: 0
; COMPUTE_PGM_RSRC2:USER_SGPR: 14
; COMPUTE_PGM_RSRC2:TRAP_HANDLER: 0
; COMPUTE_PGM_RSRC2:TGID_X_EN: 1
; COMPUTE_PGM_RSRC2:TGID_Y_EN: 0
; COMPUTE_PGM_RSRC2:TGID_Z_EN: 1
; COMPUTE_PGM_RSRC2:TIDIG_COMP_CNT: 0
	.section	.text._ZN9rocsparseL28coommnn_general_block_reduceILj1024E21rocsparse_complex_numIdEiS2_EEvT1_S3_PKS3_PKT0_PT2_ll16rocsparse_order_,"axG",@progbits,_ZN9rocsparseL28coommnn_general_block_reduceILj1024E21rocsparse_complex_numIdEiS2_EEvT1_S3_PKS3_PKT0_PT2_ll16rocsparse_order_,comdat
	.globl	_ZN9rocsparseL28coommnn_general_block_reduceILj1024E21rocsparse_complex_numIdEiS2_EEvT1_S3_PKS3_PKT0_PT2_ll16rocsparse_order_ ; -- Begin function _ZN9rocsparseL28coommnn_general_block_reduceILj1024E21rocsparse_complex_numIdEiS2_EEvT1_S3_PKS3_PKT0_PT2_ll16rocsparse_order_
	.p2align	8
	.type	_ZN9rocsparseL28coommnn_general_block_reduceILj1024E21rocsparse_complex_numIdEiS2_EEvT1_S3_PKS3_PKT0_PT2_ll16rocsparse_order_,@function
_ZN9rocsparseL28coommnn_general_block_reduceILj1024E21rocsparse_complex_numIdEiS2_EEvT1_S3_PKS3_PKT0_PT2_ll16rocsparse_order_: ; @_ZN9rocsparseL28coommnn_general_block_reduceILj1024E21rocsparse_complex_numIdEiS2_EEvT1_S3_PKS3_PKT0_PT2_ll16rocsparse_order_
; %bb.0:
	s_load_b64 s[12:13], s[0:1], 0x0
	s_waitcnt lgkmcnt(0)
	s_cmp_lt_i32 s13, 1
	s_cbranch_scc1 .LBB6_53
; %bb.1:
	s_clause 0x2
	s_load_b256 s[16:23], s[0:1], 0x8
	s_load_b64 s[10:11], s[0:1], 0x28
	s_load_b32 s9, s[0:1], 0x30
	s_mul_i32 s0, s15, s12
	s_mov_b32 s31, s15
	s_add_i32 s30, s0, s14
	v_dual_mov_b32 v12, 0 :: v_dual_lshlrev_b32 v1, 2, v0
	v_lshlrev_b32_e32 v14, 4, v0
	v_cmp_ne_u32_e64 s0, 0, v0
	v_cmp_lt_u32_e64 s1, 1, v0
	s_delay_alu instid0(VALU_DEP_4)
	v_mad_u64_u32 v[9:10], null, s30, s13, v[0:1]
	v_mad_u64_u32 v[10:11], null, s31, s13, v[0:1]
	v_or_b32_e32 v13, 0x4000, v1
	v_add_nc_u32_e32 v15, 0x3ffc, v1
	v_add_nc_u32_e32 v16, -16, v14
	v_add_nc_u32_e32 v17, 0x3ff8, v1
	v_subrev_nc_u32_e32 v18, 32, v14
	v_cmp_lt_u32_e64 s2, 3, v0
	v_add_nc_u32_e32 v19, 0x3ff0, v1
	s_waitcnt lgkmcnt(0)
	s_cmp_lg_u32 s9, 1
	s_mul_i32 s9, s15, s11
	s_cselect_b32 s24, -1, 0
	s_mul_hi_u32 s11, s15, s10
	s_ashr_i32 s25, s15, 31
	s_ashr_i32 s15, s14, 31
	s_add_i32 s9, s11, s9
	s_mul_i32 s25, s25, s10
	s_lshl_b64 s[26:27], s[14:15], 4
	s_add_i32 s11, s9, s25
	s_mul_i32 s10, s31, s10
	s_add_u32 s25, s20, s26
	s_addc_u32 s26, s21, s27
	s_lshl_b64 s[28:29], s[10:11], 4
	s_mul_i32 s10, s14, s23
	s_mul_hi_u32 s11, s14, s22
	s_add_u32 s25, s25, s28
	s_addc_u32 s26, s26, s29
	s_add_i32 s10, s11, s10
	s_mul_i32 s11, s15, s22
	v_subrev_nc_u32_e32 v20, 64, v14
	s_add_i32 s11, s10, s11
	s_mul_i32 s10, s14, s22
	v_cmp_lt_u32_e64 s3, 7, v0
	s_lshl_b64 s[14:15], s[10:11], 4
	v_add_nc_u32_e32 v21, 0x3fe0, v1
	v_add_nc_u32_e32 v22, 0xffffff80, v14
	v_cmp_lt_u32_e64 s4, 15, v0
	v_add_nc_u32_e32 v23, 0x3fc0, v1
	v_add_nc_u32_e32 v24, 0xffffff00, v14
	v_cmp_lt_u32_e64 s5, 31, v0
	;; [unrolled: 3-line block ×6, first 2 shown]
	v_add_nc_u32_e32 v33, 0x3800, v1
	v_add_nc_u32_e32 v34, 0xffffe000, v14
	v_cmp_ne_u32_e64 s10, 0x3ff, v0
	s_add_u32 s11, s20, s14
	s_addc_u32 s15, s21, s15
	s_add_u32 s14, s11, s28
	s_mov_b32 s12, 0
	s_addc_u32 s15, s15, s29
	s_branch .LBB6_4
.LBB6_2:                                ;   in Loop: Header=BB6_4 Depth=1
	global_load_b128 v[3:6], v[1:2], off
	ds_load_b128 v[35:38], v14
	s_waitcnt vmcnt(0) lgkmcnt(0)
	v_add_f64 v[3:4], v[35:36], v[3:4]
	v_add_f64 v[5:6], v[37:38], v[5:6]
	global_store_b128 v[1:2], v[3:6], off
.LBB6_3:                                ;   in Loop: Header=BB6_4 Depth=1
	s_or_b32 exec_lo, exec_lo, s11
	s_addk_i32 s12, 0x400
	s_waitcnt_vscnt null, 0x0
	s_cmp_ge_i32 s12, s13
	s_barrier
	buffer_gl0_inv
	s_cbranch_scc1 .LBB6_53
.LBB6_4:                                ; =>This Inner Loop Header: Depth=1
	v_mov_b32_e32 v3, 0
	v_dual_mov_b32 v4, 0 :: v_dual_add_nc_u32 v1, s12, v0
	v_mov_b32_e32 v11, -1
	s_mov_b32 s11, exec_lo
	s_delay_alu instid0(VALU_DEP_2)
	v_dual_mov_b32 v8, v4 :: v_dual_mov_b32 v7, v3
	v_dual_mov_b32 v6, v4 :: v_dual_mov_b32 v5, v3
	v_cmpx_gt_i32_e64 s13, v1
	s_cbranch_execz .LBB6_6
; %bb.5:                                ;   in Loop: Header=BB6_4 Depth=1
	v_add_nc_u32_e32 v1, s12, v10
	v_add_nc_u32_e32 v5, s12, v9
	s_delay_alu instid0(VALU_DEP_2) | instskip(NEXT) | instid1(VALU_DEP_2)
	v_ashrrev_i32_e32 v2, 31, v1
	v_ashrrev_i32_e32 v6, 31, v5
	s_delay_alu instid0(VALU_DEP_2) | instskip(NEXT) | instid1(VALU_DEP_2)
	v_lshlrev_b64 v[1:2], 2, v[1:2]
	v_lshlrev_b64 v[5:6], 4, v[5:6]
	s_delay_alu instid0(VALU_DEP_2) | instskip(NEXT) | instid1(VALU_DEP_3)
	v_add_co_u32 v1, vcc_lo, s16, v1
	v_add_co_ci_u32_e32 v2, vcc_lo, s17, v2, vcc_lo
	s_delay_alu instid0(VALU_DEP_3) | instskip(NEXT) | instid1(VALU_DEP_4)
	v_add_co_u32 v5, vcc_lo, s18, v5
	v_add_co_ci_u32_e32 v6, vcc_lo, s19, v6, vcc_lo
	global_load_b32 v11, v[1:2], off
	global_load_b128 v[5:8], v[5:6], off
.LBB6_6:                                ;   in Loop: Header=BB6_4 Depth=1
	s_or_b32 exec_lo, exec_lo, s11
	v_dual_mov_b32 v1, v3 :: v_dual_mov_b32 v2, v4
	s_waitcnt vmcnt(1)
	ds_store_b32 v13, v11
	s_waitcnt vmcnt(0)
	ds_store_b128 v14, v[5:8]
	s_waitcnt lgkmcnt(0)
	s_barrier
	buffer_gl0_inv
	s_and_saveexec_b32 s11, s0
	s_cbranch_execz .LBB6_10
; %bb.7:                                ;   in Loop: Header=BB6_4 Depth=1
	ds_load_2addr_b32 v[3:4], v15 offset1:1
	v_mov_b32_e32 v1, 0
	v_mov_b32_e32 v2, 0
	s_waitcnt lgkmcnt(0)
	v_cmp_eq_u32_e32 vcc_lo, v4, v3
	s_delay_alu instid0(VALU_DEP_2)
	v_dual_mov_b32 v4, v2 :: v_dual_mov_b32 v3, v1
	s_and_saveexec_b32 s20, vcc_lo
	s_cbranch_execz .LBB6_9
; %bb.8:                                ;   in Loop: Header=BB6_4 Depth=1
	ds_load_b128 v[1:4], v16
.LBB6_9:                                ;   in Loop: Header=BB6_4 Depth=1
	s_or_b32 exec_lo, exec_lo, s20
.LBB6_10:                               ;   in Loop: Header=BB6_4 Depth=1
	s_delay_alu instid0(SALU_CYCLE_1)
	s_or_b32 exec_lo, exec_lo, s11
	s_waitcnt lgkmcnt(0)
	s_barrier
	buffer_gl0_inv
	ds_load_b128 v[5:8], v14
	s_waitcnt lgkmcnt(0)
	v_add_f64 v[35:36], v[1:2], v[5:6]
	v_add_f64 v[37:38], v[3:4], v[7:8]
	v_mov_b32_e32 v3, 0
	v_mov_b32_e32 v4, 0
	s_delay_alu instid0(VALU_DEP_1)
	v_dual_mov_b32 v8, v4 :: v_dual_mov_b32 v7, v3
	v_dual_mov_b32 v6, v4 :: v_dual_mov_b32 v5, v3
	ds_store_b128 v14, v[35:38]
	s_waitcnt lgkmcnt(0)
	s_barrier
	buffer_gl0_inv
	s_and_saveexec_b32 s11, s1
	s_cbranch_execz .LBB6_14
; %bb.11:                               ;   in Loop: Header=BB6_4 Depth=1
	ds_load_b32 v1, v13
	ds_load_b32 v2, v17
	v_mov_b32_e32 v5, 0
	v_mov_b32_e32 v6, 0
	s_mov_b32 s20, exec_lo
	s_delay_alu instid0(VALU_DEP_1)
	v_dual_mov_b32 v8, v6 :: v_dual_mov_b32 v7, v5
	s_waitcnt lgkmcnt(0)
	v_cmpx_eq_u32_e64 v1, v2
	s_cbranch_execz .LBB6_13
; %bb.12:                               ;   in Loop: Header=BB6_4 Depth=1
	ds_load_b128 v[5:8], v18
.LBB6_13:                               ;   in Loop: Header=BB6_4 Depth=1
	s_or_b32 exec_lo, exec_lo, s20
.LBB6_14:                               ;   in Loop: Header=BB6_4 Depth=1
	s_delay_alu instid0(SALU_CYCLE_1)
	s_or_b32 exec_lo, exec_lo, s11
	s_waitcnt lgkmcnt(0)
	s_barrier
	buffer_gl0_inv
	ds_load_b128 v[35:38], v14
	v_dual_mov_b32 v1, v3 :: v_dual_mov_b32 v2, v4
	s_waitcnt lgkmcnt(0)
	v_add_f64 v[5:6], v[5:6], v[35:36]
	v_add_f64 v[7:8], v[7:8], v[37:38]
	ds_store_b128 v14, v[5:8]
	s_waitcnt lgkmcnt(0)
	s_barrier
	buffer_gl0_inv
	s_and_saveexec_b32 s11, s2
	s_cbranch_execz .LBB6_18
; %bb.15:                               ;   in Loop: Header=BB6_4 Depth=1
	ds_load_b32 v3, v13
	ds_load_b32 v4, v19
	v_mov_b32_e32 v1, 0
	v_mov_b32_e32 v2, 0
	s_waitcnt lgkmcnt(0)
	v_cmp_eq_u32_e32 vcc_lo, v3, v4
	s_delay_alu instid0(VALU_DEP_2)
	v_dual_mov_b32 v4, v2 :: v_dual_mov_b32 v3, v1
	s_and_saveexec_b32 s20, vcc_lo
	s_cbranch_execz .LBB6_17
; %bb.16:                               ;   in Loop: Header=BB6_4 Depth=1
	ds_load_b128 v[1:4], v20
.LBB6_17:                               ;   in Loop: Header=BB6_4 Depth=1
	s_or_b32 exec_lo, exec_lo, s20
.LBB6_18:                               ;   in Loop: Header=BB6_4 Depth=1
	s_delay_alu instid0(SALU_CYCLE_1)
	s_or_b32 exec_lo, exec_lo, s11
	s_waitcnt lgkmcnt(0)
	s_barrier
	buffer_gl0_inv
	ds_load_b128 v[5:8], v14
	s_waitcnt lgkmcnt(0)
	v_add_f64 v[35:36], v[1:2], v[5:6]
	v_add_f64 v[37:38], v[3:4], v[7:8]
	v_mov_b32_e32 v3, 0
	v_mov_b32_e32 v4, 0
	s_delay_alu instid0(VALU_DEP_1)
	v_dual_mov_b32 v8, v4 :: v_dual_mov_b32 v7, v3
	v_dual_mov_b32 v6, v4 :: v_dual_mov_b32 v5, v3
	ds_store_b128 v14, v[35:38]
	s_waitcnt lgkmcnt(0)
	s_barrier
	buffer_gl0_inv
	s_and_saveexec_b32 s11, s3
	s_cbranch_execz .LBB6_22
; %bb.19:                               ;   in Loop: Header=BB6_4 Depth=1
	ds_load_b32 v1, v13
	ds_load_b32 v2, v21
	v_mov_b32_e32 v5, 0
	v_mov_b32_e32 v6, 0
	s_mov_b32 s20, exec_lo
	s_delay_alu instid0(VALU_DEP_1)
	v_dual_mov_b32 v8, v6 :: v_dual_mov_b32 v7, v5
	s_waitcnt lgkmcnt(0)
	v_cmpx_eq_u32_e64 v1, v2
	s_cbranch_execz .LBB6_21
; %bb.20:                               ;   in Loop: Header=BB6_4 Depth=1
	ds_load_b128 v[5:8], v22
.LBB6_21:                               ;   in Loop: Header=BB6_4 Depth=1
	s_or_b32 exec_lo, exec_lo, s20
.LBB6_22:                               ;   in Loop: Header=BB6_4 Depth=1
	s_delay_alu instid0(SALU_CYCLE_1)
	s_or_b32 exec_lo, exec_lo, s11
	s_waitcnt lgkmcnt(0)
	s_barrier
	buffer_gl0_inv
	ds_load_b128 v[35:38], v14
	v_dual_mov_b32 v1, v3 :: v_dual_mov_b32 v2, v4
	s_waitcnt lgkmcnt(0)
	v_add_f64 v[5:6], v[5:6], v[35:36]
	v_add_f64 v[7:8], v[7:8], v[37:38]
	ds_store_b128 v14, v[5:8]
	s_waitcnt lgkmcnt(0)
	s_barrier
	buffer_gl0_inv
	s_and_saveexec_b32 s11, s4
	s_cbranch_execz .LBB6_26
; %bb.23:                               ;   in Loop: Header=BB6_4 Depth=1
	ds_load_b32 v3, v13
	ds_load_b32 v4, v23
	v_mov_b32_e32 v1, 0
	v_mov_b32_e32 v2, 0
	s_waitcnt lgkmcnt(0)
	v_cmp_eq_u32_e32 vcc_lo, v3, v4
	s_delay_alu instid0(VALU_DEP_2)
	v_dual_mov_b32 v4, v2 :: v_dual_mov_b32 v3, v1
	s_and_saveexec_b32 s20, vcc_lo
	s_cbranch_execz .LBB6_25
; %bb.24:                               ;   in Loop: Header=BB6_4 Depth=1
	ds_load_b128 v[1:4], v24
.LBB6_25:                               ;   in Loop: Header=BB6_4 Depth=1
	s_or_b32 exec_lo, exec_lo, s20
.LBB6_26:                               ;   in Loop: Header=BB6_4 Depth=1
	s_delay_alu instid0(SALU_CYCLE_1)
	s_or_b32 exec_lo, exec_lo, s11
	s_waitcnt lgkmcnt(0)
	s_barrier
	buffer_gl0_inv
	ds_load_b128 v[5:8], v14
	s_waitcnt lgkmcnt(0)
	v_add_f64 v[35:36], v[1:2], v[5:6]
	v_add_f64 v[37:38], v[3:4], v[7:8]
	v_mov_b32_e32 v3, 0
	v_mov_b32_e32 v4, 0
	s_delay_alu instid0(VALU_DEP_1)
	v_dual_mov_b32 v8, v4 :: v_dual_mov_b32 v7, v3
	v_dual_mov_b32 v6, v4 :: v_dual_mov_b32 v5, v3
	ds_store_b128 v14, v[35:38]
	s_waitcnt lgkmcnt(0)
	s_barrier
	buffer_gl0_inv
	s_and_saveexec_b32 s11, s5
	s_cbranch_execz .LBB6_30
; %bb.27:                               ;   in Loop: Header=BB6_4 Depth=1
	ds_load_b32 v1, v13
	ds_load_b32 v2, v25
	v_mov_b32_e32 v5, 0
	v_mov_b32_e32 v6, 0
	s_mov_b32 s20, exec_lo
	s_delay_alu instid0(VALU_DEP_1)
	v_dual_mov_b32 v8, v6 :: v_dual_mov_b32 v7, v5
	s_waitcnt lgkmcnt(0)
	v_cmpx_eq_u32_e64 v1, v2
	s_cbranch_execz .LBB6_29
; %bb.28:                               ;   in Loop: Header=BB6_4 Depth=1
	ds_load_b128 v[5:8], v26
.LBB6_29:                               ;   in Loop: Header=BB6_4 Depth=1
	s_or_b32 exec_lo, exec_lo, s20
.LBB6_30:                               ;   in Loop: Header=BB6_4 Depth=1
	s_delay_alu instid0(SALU_CYCLE_1)
	s_or_b32 exec_lo, exec_lo, s11
	s_waitcnt lgkmcnt(0)
	s_barrier
	buffer_gl0_inv
	ds_load_b128 v[35:38], v14
	v_dual_mov_b32 v1, v3 :: v_dual_mov_b32 v2, v4
	s_waitcnt lgkmcnt(0)
	v_add_f64 v[5:6], v[5:6], v[35:36]
	v_add_f64 v[7:8], v[7:8], v[37:38]
	ds_store_b128 v14, v[5:8]
	s_waitcnt lgkmcnt(0)
	s_barrier
	buffer_gl0_inv
	s_and_saveexec_b32 s11, s6
	s_cbranch_execz .LBB6_34
; %bb.31:                               ;   in Loop: Header=BB6_4 Depth=1
	ds_load_b32 v3, v13
	ds_load_b32 v4, v27
	v_mov_b32_e32 v1, 0
	v_mov_b32_e32 v2, 0
	s_waitcnt lgkmcnt(0)
	v_cmp_eq_u32_e32 vcc_lo, v3, v4
	s_delay_alu instid0(VALU_DEP_2)
	v_dual_mov_b32 v4, v2 :: v_dual_mov_b32 v3, v1
	s_and_saveexec_b32 s20, vcc_lo
	s_cbranch_execz .LBB6_33
; %bb.32:                               ;   in Loop: Header=BB6_4 Depth=1
	ds_load_b128 v[1:4], v28
.LBB6_33:                               ;   in Loop: Header=BB6_4 Depth=1
	s_or_b32 exec_lo, exec_lo, s20
.LBB6_34:                               ;   in Loop: Header=BB6_4 Depth=1
	s_delay_alu instid0(SALU_CYCLE_1)
	s_or_b32 exec_lo, exec_lo, s11
	s_waitcnt lgkmcnt(0)
	s_barrier
	buffer_gl0_inv
	ds_load_b128 v[5:8], v14
	s_waitcnt lgkmcnt(0)
	v_add_f64 v[35:36], v[1:2], v[5:6]
	v_add_f64 v[37:38], v[3:4], v[7:8]
	v_mov_b32_e32 v3, 0
	v_mov_b32_e32 v4, 0
	s_delay_alu instid0(VALU_DEP_1)
	v_dual_mov_b32 v8, v4 :: v_dual_mov_b32 v7, v3
	v_dual_mov_b32 v6, v4 :: v_dual_mov_b32 v5, v3
	ds_store_b128 v14, v[35:38]
	s_waitcnt lgkmcnt(0)
	s_barrier
	buffer_gl0_inv
	s_and_saveexec_b32 s11, s7
	s_cbranch_execz .LBB6_38
; %bb.35:                               ;   in Loop: Header=BB6_4 Depth=1
	ds_load_b32 v1, v13
	ds_load_b32 v2, v29
	v_mov_b32_e32 v5, 0
	v_mov_b32_e32 v6, 0
	s_mov_b32 s20, exec_lo
	s_delay_alu instid0(VALU_DEP_1)
	v_dual_mov_b32 v8, v6 :: v_dual_mov_b32 v7, v5
	s_waitcnt lgkmcnt(0)
	v_cmpx_eq_u32_e64 v1, v2
	s_cbranch_execz .LBB6_37
; %bb.36:                               ;   in Loop: Header=BB6_4 Depth=1
	ds_load_b128 v[5:8], v30
.LBB6_37:                               ;   in Loop: Header=BB6_4 Depth=1
	s_or_b32 exec_lo, exec_lo, s20
.LBB6_38:                               ;   in Loop: Header=BB6_4 Depth=1
	s_delay_alu instid0(SALU_CYCLE_1)
	s_or_b32 exec_lo, exec_lo, s11
	s_waitcnt lgkmcnt(0)
	s_barrier
	buffer_gl0_inv
	ds_load_b128 v[35:38], v14
	v_dual_mov_b32 v1, v3 :: v_dual_mov_b32 v2, v4
	s_waitcnt lgkmcnt(0)
	v_add_f64 v[5:6], v[5:6], v[35:36]
	v_add_f64 v[7:8], v[7:8], v[37:38]
	ds_store_b128 v14, v[5:8]
	s_waitcnt lgkmcnt(0)
	s_barrier
	buffer_gl0_inv
	s_and_saveexec_b32 s11, s8
	s_cbranch_execz .LBB6_42
; %bb.39:                               ;   in Loop: Header=BB6_4 Depth=1
	ds_load_b32 v3, v13
	ds_load_b32 v4, v31
	v_mov_b32_e32 v1, 0
	v_mov_b32_e32 v2, 0
	s_waitcnt lgkmcnt(0)
	v_cmp_eq_u32_e32 vcc_lo, v3, v4
	s_delay_alu instid0(VALU_DEP_2)
	v_dual_mov_b32 v4, v2 :: v_dual_mov_b32 v3, v1
	s_and_saveexec_b32 s20, vcc_lo
	s_cbranch_execz .LBB6_41
; %bb.40:                               ;   in Loop: Header=BB6_4 Depth=1
	ds_load_b128 v[1:4], v32
.LBB6_41:                               ;   in Loop: Header=BB6_4 Depth=1
	s_or_b32 exec_lo, exec_lo, s20
.LBB6_42:                               ;   in Loop: Header=BB6_4 Depth=1
	s_delay_alu instid0(SALU_CYCLE_1)
	s_or_b32 exec_lo, exec_lo, s11
	s_waitcnt lgkmcnt(0)
	s_barrier
	buffer_gl0_inv
	ds_load_b128 v[5:8], v14
	s_waitcnt lgkmcnt(0)
	v_add_f64 v[5:6], v[1:2], v[5:6]
	v_add_f64 v[7:8], v[3:4], v[7:8]
	v_mov_b32_e32 v3, 0
	v_mov_b32_e32 v4, 0
	s_delay_alu instid0(VALU_DEP_1)
	v_dual_mov_b32 v1, v3 :: v_dual_mov_b32 v2, v4
	ds_store_b128 v14, v[5:8]
	s_waitcnt lgkmcnt(0)
	s_barrier
	buffer_gl0_inv
	s_and_saveexec_b32 s11, s9
	s_cbranch_execz .LBB6_46
; %bb.43:                               ;   in Loop: Header=BB6_4 Depth=1
	ds_load_b32 v3, v13
	ds_load_b32 v4, v33
	v_mov_b32_e32 v1, 0
	v_mov_b32_e32 v2, 0
	s_waitcnt lgkmcnt(0)
	v_cmp_eq_u32_e32 vcc_lo, v3, v4
	s_delay_alu instid0(VALU_DEP_2)
	v_dual_mov_b32 v4, v2 :: v_dual_mov_b32 v3, v1
	s_and_saveexec_b32 s20, vcc_lo
	s_cbranch_execz .LBB6_45
; %bb.44:                               ;   in Loop: Header=BB6_4 Depth=1
	ds_load_b128 v[1:4], v34
.LBB6_45:                               ;   in Loop: Header=BB6_4 Depth=1
	s_or_b32 exec_lo, exec_lo, s20
.LBB6_46:                               ;   in Loop: Header=BB6_4 Depth=1
	s_delay_alu instid0(SALU_CYCLE_1)
	s_or_b32 exec_lo, exec_lo, s11
	s_waitcnt lgkmcnt(0)
	s_barrier
	buffer_gl0_inv
	ds_load_b128 v[5:8], v14
	s_waitcnt lgkmcnt(0)
	v_add_f64 v[1:2], v[1:2], v[5:6]
	v_add_f64 v[3:4], v[3:4], v[7:8]
	ds_store_b128 v14, v[1:4]
	s_waitcnt lgkmcnt(0)
	s_barrier
	buffer_gl0_inv
	ds_load_b32 v11, v13
	v_mov_b32_e32 v1, -1
	s_and_saveexec_b32 s11, s10
	s_cbranch_execz .LBB6_48
; %bb.47:                               ;   in Loop: Header=BB6_4 Depth=1
	ds_load_b32 v1, v13 offset:4
.LBB6_48:                               ;   in Loop: Header=BB6_4 Depth=1
	s_or_b32 exec_lo, exec_lo, s11
	s_waitcnt lgkmcnt(0)
	v_cmp_ne_u32_e32 vcc_lo, v11, v1
	v_cmp_lt_i32_e64 s11, -1, v11
	s_delay_alu instid0(VALU_DEP_1) | instskip(NEXT) | instid1(SALU_CYCLE_1)
	s_and_b32 s20, s11, vcc_lo
	s_and_saveexec_b32 s11, s20
	s_cbranch_execz .LBB6_3
; %bb.49:                               ;   in Loop: Header=BB6_4 Depth=1
	s_and_b32 vcc_lo, exec_lo, s24
	s_cbranch_vccz .LBB6_51
; %bb.50:                               ;   in Loop: Header=BB6_4 Depth=1
	v_mad_u64_u32 v[1:2], null, v11, s22, 0
	s_delay_alu instid0(VALU_DEP_1) | instskip(NEXT) | instid1(VALU_DEP_1)
	v_mad_u64_u32 v[3:4], null, v11, s23, v[2:3]
	v_mov_b32_e32 v2, v3
	s_delay_alu instid0(VALU_DEP_1) | instskip(NEXT) | instid1(VALU_DEP_1)
	v_lshlrev_b64 v[1:2], 4, v[1:2]
	v_add_co_u32 v1, vcc_lo, s25, v1
	s_delay_alu instid0(VALU_DEP_2)
	v_add_co_ci_u32_e32 v2, vcc_lo, s26, v2, vcc_lo
	s_cbranch_execnz .LBB6_2
	s_branch .LBB6_52
.LBB6_51:                               ;   in Loop: Header=BB6_4 Depth=1
                                        ; implicit-def: $vgpr1_vgpr2
.LBB6_52:                               ;   in Loop: Header=BB6_4 Depth=1
	v_lshlrev_b64 v[1:2], 4, v[11:12]
	s_delay_alu instid0(VALU_DEP_1) | instskip(NEXT) | instid1(VALU_DEP_2)
	v_add_co_u32 v1, vcc_lo, s14, v1
	v_add_co_ci_u32_e32 v2, vcc_lo, s15, v2, vcc_lo
	s_branch .LBB6_2
.LBB6_53:
	s_endpgm
	.section	.rodata,"a",@progbits
	.p2align	6, 0x0
	.amdhsa_kernel _ZN9rocsparseL28coommnn_general_block_reduceILj1024E21rocsparse_complex_numIdEiS2_EEvT1_S3_PKS3_PKT0_PT2_ll16rocsparse_order_
		.amdhsa_group_segment_fixed_size 20480
		.amdhsa_private_segment_fixed_size 0
		.amdhsa_kernarg_size 52
		.amdhsa_user_sgpr_count 14
		.amdhsa_user_sgpr_dispatch_ptr 0
		.amdhsa_user_sgpr_queue_ptr 0
		.amdhsa_user_sgpr_kernarg_segment_ptr 1
		.amdhsa_user_sgpr_dispatch_id 0
		.amdhsa_user_sgpr_private_segment_size 0
		.amdhsa_wavefront_size32 1
		.amdhsa_uses_dynamic_stack 0
		.amdhsa_enable_private_segment 0
		.amdhsa_system_sgpr_workgroup_id_x 1
		.amdhsa_system_sgpr_workgroup_id_y 0
		.amdhsa_system_sgpr_workgroup_id_z 1
		.amdhsa_system_sgpr_workgroup_info 0
		.amdhsa_system_vgpr_workitem_id 0
		.amdhsa_next_free_vgpr 39
		.amdhsa_next_free_sgpr 32
		.amdhsa_reserve_vcc 1
		.amdhsa_float_round_mode_32 0
		.amdhsa_float_round_mode_16_64 0
		.amdhsa_float_denorm_mode_32 3
		.amdhsa_float_denorm_mode_16_64 3
		.amdhsa_dx10_clamp 1
		.amdhsa_ieee_mode 1
		.amdhsa_fp16_overflow 0
		.amdhsa_workgroup_processor_mode 1
		.amdhsa_memory_ordered 1
		.amdhsa_forward_progress 0
		.amdhsa_shared_vgpr_count 0
		.amdhsa_exception_fp_ieee_invalid_op 0
		.amdhsa_exception_fp_denorm_src 0
		.amdhsa_exception_fp_ieee_div_zero 0
		.amdhsa_exception_fp_ieee_overflow 0
		.amdhsa_exception_fp_ieee_underflow 0
		.amdhsa_exception_fp_ieee_inexact 0
		.amdhsa_exception_int_div_zero 0
	.end_amdhsa_kernel
	.section	.text._ZN9rocsparseL28coommnn_general_block_reduceILj1024E21rocsparse_complex_numIdEiS2_EEvT1_S3_PKS3_PKT0_PT2_ll16rocsparse_order_,"axG",@progbits,_ZN9rocsparseL28coommnn_general_block_reduceILj1024E21rocsparse_complex_numIdEiS2_EEvT1_S3_PKS3_PKT0_PT2_ll16rocsparse_order_,comdat
.Lfunc_end6:
	.size	_ZN9rocsparseL28coommnn_general_block_reduceILj1024E21rocsparse_complex_numIdEiS2_EEvT1_S3_PKS3_PKT0_PT2_ll16rocsparse_order_, .Lfunc_end6-_ZN9rocsparseL28coommnn_general_block_reduceILj1024E21rocsparse_complex_numIdEiS2_EEvT1_S3_PKS3_PKT0_PT2_ll16rocsparse_order_
                                        ; -- End function
	.section	.AMDGPU.csdata,"",@progbits
; Kernel info:
; codeLenInByte = 2556
; NumSgprs: 34
; NumVgprs: 39
; ScratchSize: 0
; MemoryBound: 0
; FloatMode: 240
; IeeeMode: 1
; LDSByteSize: 20480 bytes/workgroup (compile time only)
; SGPRBlocks: 4
; VGPRBlocks: 4
; NumSGPRsForWavesPerEU: 34
; NumVGPRsForWavesPerEU: 39
; Occupancy: 16
; WaveLimiterHint : 0
; COMPUTE_PGM_RSRC2:SCRATCH_EN: 0
; COMPUTE_PGM_RSRC2:USER_SGPR: 14
; COMPUTE_PGM_RSRC2:TRAP_HANDLER: 0
; COMPUTE_PGM_RSRC2:TGID_X_EN: 1
; COMPUTE_PGM_RSRC2:TGID_Y_EN: 0
; COMPUTE_PGM_RSRC2:TGID_Z_EN: 1
; COMPUTE_PGM_RSRC2:TIDIG_COMP_CNT: 0
	.section	.text._ZN9rocsparseL28coommnn_general_block_reduceILj1024E21rocsparse_complex_numIdElS2_EEvT1_S3_PKS3_PKT0_PT2_ll16rocsparse_order_,"axG",@progbits,_ZN9rocsparseL28coommnn_general_block_reduceILj1024E21rocsparse_complex_numIdElS2_EEvT1_S3_PKS3_PKT0_PT2_ll16rocsparse_order_,comdat
	.globl	_ZN9rocsparseL28coommnn_general_block_reduceILj1024E21rocsparse_complex_numIdElS2_EEvT1_S3_PKS3_PKT0_PT2_ll16rocsparse_order_ ; -- Begin function _ZN9rocsparseL28coommnn_general_block_reduceILj1024E21rocsparse_complex_numIdElS2_EEvT1_S3_PKS3_PKT0_PT2_ll16rocsparse_order_
	.p2align	8
	.type	_ZN9rocsparseL28coommnn_general_block_reduceILj1024E21rocsparse_complex_numIdElS2_EEvT1_S3_PKS3_PKT0_PT2_ll16rocsparse_order_,@function
_ZN9rocsparseL28coommnn_general_block_reduceILj1024E21rocsparse_complex_numIdElS2_EEvT1_S3_PKS3_PKT0_PT2_ll16rocsparse_order_: ; @_ZN9rocsparseL28coommnn_general_block_reduceILj1024E21rocsparse_complex_numIdElS2_EEvT1_S3_PKS3_PKT0_PT2_ll16rocsparse_order_
; %bb.0:
	s_load_b128 s[24:27], s[0:1], 0x0
	s_waitcnt lgkmcnt(0)
	v_cmp_lt_i64_e64 s2, s[26:27], 1
	s_delay_alu instid0(VALU_DEP_1)
	s_and_b32 vcc_lo, exec_lo, s2
	s_cbranch_vccnz .LBB7_53
; %bb.1:
	s_clause 0x2
	s_load_b256 s[16:23], s[0:1], 0x10
	s_load_b64 s[8:9], s[0:1], 0x30
	s_load_b32 s7, s[0:1], 0x38
	s_mov_b32 s11, s15
	s_mov_b32 s15, 0
	v_lshlrev_b32_e32 v15, 4, v0
	s_lshl_b64 s[12:13], s[14:15], 4
	v_lshlrev_b32_e32 v1, 3, v0
	v_cmp_ne_u32_e64 s0, 0, v0
	v_cmp_lt_u32_e64 s1, 1, v0
	v_cmp_lt_u32_e64 s2, 3, v0
	;; [unrolled: 1-line block ×3, first 2 shown]
	v_or_b32_e32 v16, 0x4000, v1
	v_add_nc_u32_e32 v17, 0x3ff8, v1
	v_add_nc_u32_e32 v18, -16, v15
	v_add_nc_u32_e32 v19, 0x3ff0, v1
	v_subrev_nc_u32_e32 v20, 32, v15
	v_add_nc_u32_e32 v21, 0x3fe0, v1
	v_subrev_nc_u32_e32 v22, 64, v15
	v_add_nc_u32_e32 v23, 0x3fc0, v1
	s_waitcnt lgkmcnt(0)
	s_add_u32 s10, s20, s12
	s_addc_u32 s29, s21, s13
	s_ashr_i32 s33, s11, 31
	s_cmp_lg_u32 s7, 1
	s_mul_i32 s7, s11, s9
	s_mul_hi_u32 s9, s11, s8
	s_cselect_b32 s15, -1, 0
	s_add_i32 s7, s9, s7
	s_mul_i32 s9, s33, s8
	s_mul_i32 s8, s11, s8
	s_add_i32 s9, s7, s9
	v_add_nc_u32_e32 v24, 0xffffff80, v15
	s_lshl_b64 s[30:31], s[8:9], 4
	s_mul_i32 s8, s14, s23
	s_mul_hi_u32 s9, s14, s22
	s_add_u32 s28, s10, s30
	s_addc_u32 s29, s29, s31
	s_add_i32 s9, s9, s8
	s_mul_i32 s8, s14, s22
	v_cmp_lt_u32_e64 s4, 15, v0
	s_lshl_b64 s[34:35], s[8:9], 4
	v_add_nc_u32_e32 v25, 0x3f80, v1
	s_add_u32 s9, s20, s34
	s_addc_u32 s10, s21, s35
	s_add_u32 s14, s9, s30
	s_mul_hi_u32 s9, s24, s11
	s_mul_i32 s21, s24, s33
	s_addc_u32 s20, s10, s31
	s_add_i32 s9, s9, s21
	s_mul_i32 s10, s25, s11
	s_mul_i32 s24, s24, s11
	s_add_i32 s25, s9, s10
	v_add_nc_u32_e32 v26, 0xffffff00, v15
	s_lshl_b64 s[24:25], s[24:25], 4
	v_cmp_lt_u32_e64 s5, 31, v0
	s_add_u32 s10, s24, s12
	s_addc_u32 s12, s25, s13
	s_mul_hi_u32 s13, s26, s10
	s_mul_i32 s12, s26, s12
	v_add_nc_u32_e32 v27, 0x3f00, v1
	s_add_i32 s12, s13, s12
	s_mul_i32 s13, s27, s10
	s_mul_i32 s10, s26, s10
	s_add_i32 s12, s12, s13
	s_add_u32 s18, s18, s10
	s_mul_hi_u32 s10, s26, s11
	s_mul_i32 s13, s26, s33
	s_addc_u32 s19, s19, s12
	s_add_i32 s12, s10, s13
	s_mul_i32 s13, s27, s11
	v_add_nc_u32_e32 v28, 0xfffffe00, v15
	s_add_i32 s13, s12, s13
	s_mul_i32 s12, s26, s11
	v_add_co_u32 v2, s11, s18, v15
	s_lshl_b64 s[12:13], s[12:13], 3
	v_add_co_ci_u32_e64 v3, null, s19, 0, s11
	s_add_u32 s11, s16, s12
	s_delay_alu instid0(VALU_DEP_2)
	v_add_co_u32 v9, vcc_lo, v2, 8
	s_addc_u32 s12, s17, s13
	v_add_co_u32 v11, s11, s11, v1
	v_cmp_lt_u32_e64 s6, 63, v0
	v_add_nc_u32_e32 v29, 0x3e00, v1
	v_add_nc_u32_e32 v30, 0xfffffc00, v15
	v_cmp_lt_u32_e64 s7, 0x7f, v0
	v_add_nc_u32_e32 v31, 0x3c00, v1
	v_add_nc_u32_e32 v32, 0xfffff800, v15
	;; [unrolled: 3-line block ×4, first 2 shown]
	v_cmp_ne_u32_e64 s10, 0x3ff, v0
	v_add_co_ci_u32_e32 v10, vcc_lo, 0, v3, vcc_lo
	v_add_co_ci_u32_e64 v12, null, s12, 0, s11
	s_mov_b64 s[12:13], 0
	s_branch .LBB7_4
.LBB7_2:                                ;   in Loop: Header=BB7_4 Depth=1
	global_load_b128 v[5:8], v[3:4], off
	ds_load_b128 v[37:40], v15
	s_waitcnt vmcnt(0) lgkmcnt(0)
	v_add_f64 v[5:6], v[37:38], v[5:6]
	v_add_f64 v[7:8], v[39:40], v[7:8]
	global_store_b128 v[3:4], v[5:8], off
.LBB7_3:                                ;   in Loop: Header=BB7_4 Depth=1
	s_or_b32 exec_lo, exec_lo, s11
	s_add_u32 s12, s12, 0x400
	s_addc_u32 s13, s13, 0
	v_add_co_u32 v9, vcc_lo, 0x4000, v9
	v_cmp_ge_i64_e64 s11, s[12:13], s[26:27]
	v_add_co_ci_u32_e32 v10, vcc_lo, 0, v10, vcc_lo
	v_add_co_u32 v11, vcc_lo, 0x2000, v11
	v_add_co_ci_u32_e32 v12, vcc_lo, 0, v12, vcc_lo
	s_delay_alu instid0(VALU_DEP_4)
	s_and_b32 vcc_lo, exec_lo, s11
	s_waitcnt_vscnt null, 0x0
	s_barrier
	buffer_gl0_inv
	s_cbranch_vccnz .LBB7_53
.LBB7_4:                                ; =>This Inner Loop Header: Depth=1
	v_mov_b32_e32 v3, 0
	v_dual_mov_b32 v4, 0 :: v_dual_mov_b32 v13, -1
	v_add_co_u32 v1, s11, v0, s12
	s_delay_alu instid0(VALU_DEP_1) | instskip(SKIP_1) | instid1(VALU_DEP_4)
	v_add_co_ci_u32_e64 v2, null, 0, s13, s11
	v_mov_b32_e32 v14, -1
	v_dual_mov_b32 v8, v4 :: v_dual_mov_b32 v7, v3
	v_dual_mov_b32 v6, v4 :: v_dual_mov_b32 v5, v3
	s_mov_b32 s11, exec_lo
	v_cmpx_gt_i64_e64 s[26:27], v[1:2]
	s_cbranch_execz .LBB7_6
; %bb.5:                                ;   in Loop: Header=BB7_4 Depth=1
	global_load_b64 v[13:14], v[11:12], off
	global_load_b128 v[5:8], v[9:10], off offset:-8
.LBB7_6:                                ;   in Loop: Header=BB7_4 Depth=1
	s_or_b32 exec_lo, exec_lo, s11
	v_dual_mov_b32 v1, v3 :: v_dual_mov_b32 v2, v4
	s_waitcnt vmcnt(1)
	ds_store_b64 v16, v[13:14]
	s_waitcnt vmcnt(0)
	ds_store_b128 v15, v[5:8]
	s_waitcnt lgkmcnt(0)
	s_barrier
	buffer_gl0_inv
	s_and_saveexec_b32 s11, s0
	s_cbranch_execz .LBB7_10
; %bb.7:                                ;   in Loop: Header=BB7_4 Depth=1
	ds_load_2addr_b64 v[3:6], v17 offset1:1
	v_mov_b32_e32 v1, 0
	v_mov_b32_e32 v2, 0
	s_waitcnt lgkmcnt(0)
	v_cmp_eq_u64_e32 vcc_lo, v[5:6], v[3:4]
	s_delay_alu instid0(VALU_DEP_2)
	v_dual_mov_b32 v4, v2 :: v_dual_mov_b32 v3, v1
	s_and_saveexec_b32 s16, vcc_lo
	s_cbranch_execz .LBB7_9
; %bb.8:                                ;   in Loop: Header=BB7_4 Depth=1
	ds_load_b128 v[1:4], v18
.LBB7_9:                                ;   in Loop: Header=BB7_4 Depth=1
	s_or_b32 exec_lo, exec_lo, s16
.LBB7_10:                               ;   in Loop: Header=BB7_4 Depth=1
	s_delay_alu instid0(SALU_CYCLE_1)
	s_or_b32 exec_lo, exec_lo, s11
	s_waitcnt lgkmcnt(0)
	s_barrier
	buffer_gl0_inv
	ds_load_b128 v[5:8], v15
	s_waitcnt lgkmcnt(0)
	v_add_f64 v[37:38], v[1:2], v[5:6]
	v_add_f64 v[39:40], v[3:4], v[7:8]
	v_mov_b32_e32 v3, 0
	v_mov_b32_e32 v4, 0
	s_delay_alu instid0(VALU_DEP_1)
	v_dual_mov_b32 v8, v4 :: v_dual_mov_b32 v7, v3
	v_dual_mov_b32 v6, v4 :: v_dual_mov_b32 v5, v3
	ds_store_b128 v15, v[37:40]
	s_waitcnt lgkmcnt(0)
	s_barrier
	buffer_gl0_inv
	s_and_saveexec_b32 s11, s1
	s_cbranch_execz .LBB7_14
; %bb.11:                               ;   in Loop: Header=BB7_4 Depth=1
	ds_load_b64 v[1:2], v16
	ds_load_b64 v[7:8], v19
	v_mov_b32_e32 v5, 0
	v_mov_b32_e32 v6, 0
	s_waitcnt lgkmcnt(0)
	v_cmp_eq_u64_e32 vcc_lo, v[1:2], v[7:8]
	s_delay_alu instid0(VALU_DEP_2)
	v_dual_mov_b32 v8, v6 :: v_dual_mov_b32 v7, v5
	s_and_saveexec_b32 s16, vcc_lo
	s_cbranch_execz .LBB7_13
; %bb.12:                               ;   in Loop: Header=BB7_4 Depth=1
	ds_load_b128 v[5:8], v20
.LBB7_13:                               ;   in Loop: Header=BB7_4 Depth=1
	s_or_b32 exec_lo, exec_lo, s16
.LBB7_14:                               ;   in Loop: Header=BB7_4 Depth=1
	s_delay_alu instid0(SALU_CYCLE_1)
	s_or_b32 exec_lo, exec_lo, s11
	s_waitcnt lgkmcnt(0)
	s_barrier
	buffer_gl0_inv
	ds_load_b128 v[37:40], v15
	v_dual_mov_b32 v1, v3 :: v_dual_mov_b32 v2, v4
	s_waitcnt lgkmcnt(0)
	v_add_f64 v[5:6], v[5:6], v[37:38]
	v_add_f64 v[7:8], v[7:8], v[39:40]
	ds_store_b128 v15, v[5:8]
	s_waitcnt lgkmcnt(0)
	s_barrier
	buffer_gl0_inv
	s_and_saveexec_b32 s11, s2
	s_cbranch_execz .LBB7_18
; %bb.15:                               ;   in Loop: Header=BB7_4 Depth=1
	ds_load_b64 v[3:4], v16
	ds_load_b64 v[5:6], v21
	v_mov_b32_e32 v1, 0
	v_mov_b32_e32 v2, 0
	s_waitcnt lgkmcnt(0)
	v_cmp_eq_u64_e32 vcc_lo, v[3:4], v[5:6]
	s_delay_alu instid0(VALU_DEP_2)
	v_dual_mov_b32 v4, v2 :: v_dual_mov_b32 v3, v1
	s_and_saveexec_b32 s16, vcc_lo
	s_cbranch_execz .LBB7_17
; %bb.16:                               ;   in Loop: Header=BB7_4 Depth=1
	ds_load_b128 v[1:4], v22
.LBB7_17:                               ;   in Loop: Header=BB7_4 Depth=1
	s_or_b32 exec_lo, exec_lo, s16
.LBB7_18:                               ;   in Loop: Header=BB7_4 Depth=1
	s_delay_alu instid0(SALU_CYCLE_1)
	s_or_b32 exec_lo, exec_lo, s11
	s_waitcnt lgkmcnt(0)
	s_barrier
	buffer_gl0_inv
	ds_load_b128 v[5:8], v15
	s_waitcnt lgkmcnt(0)
	v_add_f64 v[37:38], v[1:2], v[5:6]
	v_add_f64 v[39:40], v[3:4], v[7:8]
	v_mov_b32_e32 v3, 0
	v_mov_b32_e32 v4, 0
	s_delay_alu instid0(VALU_DEP_1)
	v_dual_mov_b32 v8, v4 :: v_dual_mov_b32 v7, v3
	v_dual_mov_b32 v6, v4 :: v_dual_mov_b32 v5, v3
	ds_store_b128 v15, v[37:40]
	s_waitcnt lgkmcnt(0)
	s_barrier
	buffer_gl0_inv
	s_and_saveexec_b32 s11, s3
	s_cbranch_execz .LBB7_22
; %bb.19:                               ;   in Loop: Header=BB7_4 Depth=1
	ds_load_b64 v[1:2], v16
	ds_load_b64 v[7:8], v23
	v_mov_b32_e32 v5, 0
	v_mov_b32_e32 v6, 0
	s_waitcnt lgkmcnt(0)
	v_cmp_eq_u64_e32 vcc_lo, v[1:2], v[7:8]
	s_delay_alu instid0(VALU_DEP_2)
	v_dual_mov_b32 v8, v6 :: v_dual_mov_b32 v7, v5
	s_and_saveexec_b32 s16, vcc_lo
	s_cbranch_execz .LBB7_21
; %bb.20:                               ;   in Loop: Header=BB7_4 Depth=1
	ds_load_b128 v[5:8], v24
.LBB7_21:                               ;   in Loop: Header=BB7_4 Depth=1
	s_or_b32 exec_lo, exec_lo, s16
.LBB7_22:                               ;   in Loop: Header=BB7_4 Depth=1
	s_delay_alu instid0(SALU_CYCLE_1)
	s_or_b32 exec_lo, exec_lo, s11
	s_waitcnt lgkmcnt(0)
	s_barrier
	buffer_gl0_inv
	ds_load_b128 v[37:40], v15
	v_dual_mov_b32 v1, v3 :: v_dual_mov_b32 v2, v4
	s_waitcnt lgkmcnt(0)
	v_add_f64 v[5:6], v[5:6], v[37:38]
	v_add_f64 v[7:8], v[7:8], v[39:40]
	ds_store_b128 v15, v[5:8]
	s_waitcnt lgkmcnt(0)
	s_barrier
	buffer_gl0_inv
	s_and_saveexec_b32 s11, s4
	s_cbranch_execz .LBB7_26
; %bb.23:                               ;   in Loop: Header=BB7_4 Depth=1
	ds_load_b64 v[3:4], v16
	ds_load_b64 v[5:6], v25
	v_mov_b32_e32 v1, 0
	v_mov_b32_e32 v2, 0
	s_waitcnt lgkmcnt(0)
	v_cmp_eq_u64_e32 vcc_lo, v[3:4], v[5:6]
	s_delay_alu instid0(VALU_DEP_2)
	v_dual_mov_b32 v4, v2 :: v_dual_mov_b32 v3, v1
	s_and_saveexec_b32 s16, vcc_lo
	s_cbranch_execz .LBB7_25
; %bb.24:                               ;   in Loop: Header=BB7_4 Depth=1
	ds_load_b128 v[1:4], v26
.LBB7_25:                               ;   in Loop: Header=BB7_4 Depth=1
	s_or_b32 exec_lo, exec_lo, s16
.LBB7_26:                               ;   in Loop: Header=BB7_4 Depth=1
	s_delay_alu instid0(SALU_CYCLE_1)
	s_or_b32 exec_lo, exec_lo, s11
	s_waitcnt lgkmcnt(0)
	s_barrier
	buffer_gl0_inv
	ds_load_b128 v[5:8], v15
	s_waitcnt lgkmcnt(0)
	v_add_f64 v[37:38], v[1:2], v[5:6]
	v_add_f64 v[39:40], v[3:4], v[7:8]
	v_mov_b32_e32 v3, 0
	v_mov_b32_e32 v4, 0
	s_delay_alu instid0(VALU_DEP_1)
	v_dual_mov_b32 v8, v4 :: v_dual_mov_b32 v7, v3
	v_dual_mov_b32 v6, v4 :: v_dual_mov_b32 v5, v3
	ds_store_b128 v15, v[37:40]
	s_waitcnt lgkmcnt(0)
	s_barrier
	buffer_gl0_inv
	s_and_saveexec_b32 s11, s5
	s_cbranch_execz .LBB7_30
; %bb.27:                               ;   in Loop: Header=BB7_4 Depth=1
	ds_load_b64 v[1:2], v16
	ds_load_b64 v[7:8], v27
	v_mov_b32_e32 v5, 0
	v_mov_b32_e32 v6, 0
	s_waitcnt lgkmcnt(0)
	v_cmp_eq_u64_e32 vcc_lo, v[1:2], v[7:8]
	s_delay_alu instid0(VALU_DEP_2)
	v_dual_mov_b32 v8, v6 :: v_dual_mov_b32 v7, v5
	s_and_saveexec_b32 s16, vcc_lo
	s_cbranch_execz .LBB7_29
; %bb.28:                               ;   in Loop: Header=BB7_4 Depth=1
	ds_load_b128 v[5:8], v28
.LBB7_29:                               ;   in Loop: Header=BB7_4 Depth=1
	s_or_b32 exec_lo, exec_lo, s16
.LBB7_30:                               ;   in Loop: Header=BB7_4 Depth=1
	s_delay_alu instid0(SALU_CYCLE_1)
	s_or_b32 exec_lo, exec_lo, s11
	s_waitcnt lgkmcnt(0)
	s_barrier
	buffer_gl0_inv
	ds_load_b128 v[37:40], v15
	v_dual_mov_b32 v1, v3 :: v_dual_mov_b32 v2, v4
	s_waitcnt lgkmcnt(0)
	v_add_f64 v[5:6], v[5:6], v[37:38]
	v_add_f64 v[7:8], v[7:8], v[39:40]
	ds_store_b128 v15, v[5:8]
	s_waitcnt lgkmcnt(0)
	s_barrier
	buffer_gl0_inv
	s_and_saveexec_b32 s11, s6
	s_cbranch_execz .LBB7_34
; %bb.31:                               ;   in Loop: Header=BB7_4 Depth=1
	ds_load_b64 v[3:4], v16
	ds_load_b64 v[5:6], v29
	v_mov_b32_e32 v1, 0
	v_mov_b32_e32 v2, 0
	s_waitcnt lgkmcnt(0)
	v_cmp_eq_u64_e32 vcc_lo, v[3:4], v[5:6]
	s_delay_alu instid0(VALU_DEP_2)
	v_dual_mov_b32 v4, v2 :: v_dual_mov_b32 v3, v1
	s_and_saveexec_b32 s16, vcc_lo
	s_cbranch_execz .LBB7_33
; %bb.32:                               ;   in Loop: Header=BB7_4 Depth=1
	ds_load_b128 v[1:4], v30
.LBB7_33:                               ;   in Loop: Header=BB7_4 Depth=1
	s_or_b32 exec_lo, exec_lo, s16
.LBB7_34:                               ;   in Loop: Header=BB7_4 Depth=1
	s_delay_alu instid0(SALU_CYCLE_1)
	s_or_b32 exec_lo, exec_lo, s11
	s_waitcnt lgkmcnt(0)
	s_barrier
	buffer_gl0_inv
	ds_load_b128 v[5:8], v15
	s_waitcnt lgkmcnt(0)
	v_add_f64 v[37:38], v[1:2], v[5:6]
	v_add_f64 v[39:40], v[3:4], v[7:8]
	v_mov_b32_e32 v3, 0
	v_mov_b32_e32 v4, 0
	s_delay_alu instid0(VALU_DEP_1)
	v_dual_mov_b32 v8, v4 :: v_dual_mov_b32 v7, v3
	v_dual_mov_b32 v6, v4 :: v_dual_mov_b32 v5, v3
	ds_store_b128 v15, v[37:40]
	s_waitcnt lgkmcnt(0)
	s_barrier
	buffer_gl0_inv
	s_and_saveexec_b32 s11, s7
	s_cbranch_execz .LBB7_38
; %bb.35:                               ;   in Loop: Header=BB7_4 Depth=1
	ds_load_b64 v[1:2], v16
	ds_load_b64 v[7:8], v31
	v_mov_b32_e32 v5, 0
	v_mov_b32_e32 v6, 0
	s_waitcnt lgkmcnt(0)
	v_cmp_eq_u64_e32 vcc_lo, v[1:2], v[7:8]
	s_delay_alu instid0(VALU_DEP_2)
	v_dual_mov_b32 v8, v6 :: v_dual_mov_b32 v7, v5
	s_and_saveexec_b32 s16, vcc_lo
	s_cbranch_execz .LBB7_37
; %bb.36:                               ;   in Loop: Header=BB7_4 Depth=1
	ds_load_b128 v[5:8], v32
.LBB7_37:                               ;   in Loop: Header=BB7_4 Depth=1
	s_or_b32 exec_lo, exec_lo, s16
.LBB7_38:                               ;   in Loop: Header=BB7_4 Depth=1
	s_delay_alu instid0(SALU_CYCLE_1)
	s_or_b32 exec_lo, exec_lo, s11
	s_waitcnt lgkmcnt(0)
	s_barrier
	buffer_gl0_inv
	ds_load_b128 v[37:40], v15
	v_dual_mov_b32 v1, v3 :: v_dual_mov_b32 v2, v4
	s_waitcnt lgkmcnt(0)
	v_add_f64 v[5:6], v[5:6], v[37:38]
	v_add_f64 v[7:8], v[7:8], v[39:40]
	ds_store_b128 v15, v[5:8]
	s_waitcnt lgkmcnt(0)
	s_barrier
	buffer_gl0_inv
	s_and_saveexec_b32 s11, s8
	s_cbranch_execz .LBB7_42
; %bb.39:                               ;   in Loop: Header=BB7_4 Depth=1
	ds_load_b64 v[3:4], v16
	ds_load_b64 v[5:6], v33
	v_mov_b32_e32 v1, 0
	v_mov_b32_e32 v2, 0
	s_waitcnt lgkmcnt(0)
	v_cmp_eq_u64_e32 vcc_lo, v[3:4], v[5:6]
	s_delay_alu instid0(VALU_DEP_2)
	v_dual_mov_b32 v4, v2 :: v_dual_mov_b32 v3, v1
	s_and_saveexec_b32 s16, vcc_lo
	s_cbranch_execz .LBB7_41
; %bb.40:                               ;   in Loop: Header=BB7_4 Depth=1
	ds_load_b128 v[1:4], v34
.LBB7_41:                               ;   in Loop: Header=BB7_4 Depth=1
	s_or_b32 exec_lo, exec_lo, s16
.LBB7_42:                               ;   in Loop: Header=BB7_4 Depth=1
	s_delay_alu instid0(SALU_CYCLE_1)
	s_or_b32 exec_lo, exec_lo, s11
	s_waitcnt lgkmcnt(0)
	s_barrier
	buffer_gl0_inv
	ds_load_b128 v[5:8], v15
	s_waitcnt lgkmcnt(0)
	v_add_f64 v[5:6], v[1:2], v[5:6]
	v_add_f64 v[7:8], v[3:4], v[7:8]
	v_mov_b32_e32 v3, 0
	v_mov_b32_e32 v4, 0
	s_delay_alu instid0(VALU_DEP_1)
	v_dual_mov_b32 v1, v3 :: v_dual_mov_b32 v2, v4
	ds_store_b128 v15, v[5:8]
	s_waitcnt lgkmcnt(0)
	s_barrier
	buffer_gl0_inv
	s_and_saveexec_b32 s11, s9
	s_cbranch_execz .LBB7_46
; %bb.43:                               ;   in Loop: Header=BB7_4 Depth=1
	ds_load_b64 v[3:4], v16
	ds_load_b64 v[5:6], v35
	v_mov_b32_e32 v1, 0
	v_mov_b32_e32 v2, 0
	s_waitcnt lgkmcnt(0)
	v_cmp_eq_u64_e32 vcc_lo, v[3:4], v[5:6]
	s_delay_alu instid0(VALU_DEP_2)
	v_dual_mov_b32 v4, v2 :: v_dual_mov_b32 v3, v1
	s_and_saveexec_b32 s16, vcc_lo
	s_cbranch_execz .LBB7_45
; %bb.44:                               ;   in Loop: Header=BB7_4 Depth=1
	ds_load_b128 v[1:4], v36
.LBB7_45:                               ;   in Loop: Header=BB7_4 Depth=1
	s_or_b32 exec_lo, exec_lo, s16
.LBB7_46:                               ;   in Loop: Header=BB7_4 Depth=1
	s_delay_alu instid0(SALU_CYCLE_1)
	s_or_b32 exec_lo, exec_lo, s11
	s_waitcnt lgkmcnt(0)
	s_barrier
	buffer_gl0_inv
	ds_load_b128 v[5:8], v15
	s_waitcnt lgkmcnt(0)
	v_add_f64 v[1:2], v[1:2], v[5:6]
	v_add_f64 v[3:4], v[3:4], v[7:8]
	ds_store_b128 v15, v[1:4]
	s_waitcnt lgkmcnt(0)
	s_barrier
	buffer_gl0_inv
	ds_load_b64 v[1:2], v16
	v_mov_b32_e32 v3, -1
	v_mov_b32_e32 v4, -1
	s_and_saveexec_b32 s11, s10
	s_cbranch_execz .LBB7_48
; %bb.47:                               ;   in Loop: Header=BB7_4 Depth=1
	ds_load_b64 v[3:4], v16 offset:8
.LBB7_48:                               ;   in Loop: Header=BB7_4 Depth=1
	s_or_b32 exec_lo, exec_lo, s11
	s_waitcnt lgkmcnt(0)
	v_cmp_ne_u64_e32 vcc_lo, v[1:2], v[3:4]
	v_cmp_lt_i64_e64 s11, -1, v[1:2]
	s_delay_alu instid0(VALU_DEP_1) | instskip(NEXT) | instid1(SALU_CYCLE_1)
	s_and_b32 s16, s11, vcc_lo
	s_and_saveexec_b32 s11, s16
	s_cbranch_execz .LBB7_3
; %bb.49:                               ;   in Loop: Header=BB7_4 Depth=1
	s_and_b32 vcc_lo, exec_lo, s15
	s_cbranch_vccz .LBB7_51
; %bb.50:                               ;   in Loop: Header=BB7_4 Depth=1
	v_mul_lo_u32 v5, v2, s22
	v_mul_lo_u32 v6, v1, s23
	v_mad_u64_u32 v[3:4], null, v1, s22, 0
	s_delay_alu instid0(VALU_DEP_1) | instskip(NEXT) | instid1(VALU_DEP_1)
	v_add3_u32 v4, v4, v6, v5
	v_lshlrev_b64 v[3:4], 4, v[3:4]
	s_delay_alu instid0(VALU_DEP_1) | instskip(NEXT) | instid1(VALU_DEP_2)
	v_add_co_u32 v3, vcc_lo, s28, v3
	v_add_co_ci_u32_e32 v4, vcc_lo, s29, v4, vcc_lo
	s_cbranch_execnz .LBB7_2
	s_branch .LBB7_52
.LBB7_51:                               ;   in Loop: Header=BB7_4 Depth=1
                                        ; implicit-def: $vgpr3_vgpr4
.LBB7_52:                               ;   in Loop: Header=BB7_4 Depth=1
	v_lshlrev_b64 v[1:2], 4, v[1:2]
	s_delay_alu instid0(VALU_DEP_1) | instskip(NEXT) | instid1(VALU_DEP_2)
	v_add_co_u32 v3, vcc_lo, s14, v1
	v_add_co_ci_u32_e32 v4, vcc_lo, s20, v2, vcc_lo
	s_branch .LBB7_2
.LBB7_53:
	s_endpgm
	.section	.rodata,"a",@progbits
	.p2align	6, 0x0
	.amdhsa_kernel _ZN9rocsparseL28coommnn_general_block_reduceILj1024E21rocsparse_complex_numIdElS2_EEvT1_S3_PKS3_PKT0_PT2_ll16rocsparse_order_
		.amdhsa_group_segment_fixed_size 24576
		.amdhsa_private_segment_fixed_size 0
		.amdhsa_kernarg_size 60
		.amdhsa_user_sgpr_count 14
		.amdhsa_user_sgpr_dispatch_ptr 0
		.amdhsa_user_sgpr_queue_ptr 0
		.amdhsa_user_sgpr_kernarg_segment_ptr 1
		.amdhsa_user_sgpr_dispatch_id 0
		.amdhsa_user_sgpr_private_segment_size 0
		.amdhsa_wavefront_size32 1
		.amdhsa_uses_dynamic_stack 0
		.amdhsa_enable_private_segment 0
		.amdhsa_system_sgpr_workgroup_id_x 1
		.amdhsa_system_sgpr_workgroup_id_y 0
		.amdhsa_system_sgpr_workgroup_id_z 1
		.amdhsa_system_sgpr_workgroup_info 0
		.amdhsa_system_vgpr_workitem_id 0
		.amdhsa_next_free_vgpr 41
		.amdhsa_next_free_sgpr 36
		.amdhsa_reserve_vcc 1
		.amdhsa_float_round_mode_32 0
		.amdhsa_float_round_mode_16_64 0
		.amdhsa_float_denorm_mode_32 3
		.amdhsa_float_denorm_mode_16_64 3
		.amdhsa_dx10_clamp 1
		.amdhsa_ieee_mode 1
		.amdhsa_fp16_overflow 0
		.amdhsa_workgroup_processor_mode 1
		.amdhsa_memory_ordered 1
		.amdhsa_forward_progress 0
		.amdhsa_shared_vgpr_count 0
		.amdhsa_exception_fp_ieee_invalid_op 0
		.amdhsa_exception_fp_denorm_src 0
		.amdhsa_exception_fp_ieee_div_zero 0
		.amdhsa_exception_fp_ieee_overflow 0
		.amdhsa_exception_fp_ieee_underflow 0
		.amdhsa_exception_fp_ieee_inexact 0
		.amdhsa_exception_int_div_zero 0
	.end_amdhsa_kernel
	.section	.text._ZN9rocsparseL28coommnn_general_block_reduceILj1024E21rocsparse_complex_numIdElS2_EEvT1_S3_PKS3_PKT0_PT2_ll16rocsparse_order_,"axG",@progbits,_ZN9rocsparseL28coommnn_general_block_reduceILj1024E21rocsparse_complex_numIdElS2_EEvT1_S3_PKS3_PKT0_PT2_ll16rocsparse_order_,comdat
.Lfunc_end7:
	.size	_ZN9rocsparseL28coommnn_general_block_reduceILj1024E21rocsparse_complex_numIdElS2_EEvT1_S3_PKS3_PKT0_PT2_ll16rocsparse_order_, .Lfunc_end7-_ZN9rocsparseL28coommnn_general_block_reduceILj1024E21rocsparse_complex_numIdElS2_EEvT1_S3_PKS3_PKT0_PT2_ll16rocsparse_order_
                                        ; -- End function
	.section	.AMDGPU.csdata,"",@progbits
; Kernel info:
; codeLenInByte = 2672
; NumSgprs: 38
; NumVgprs: 41
; ScratchSize: 0
; MemoryBound: 1
; FloatMode: 240
; IeeeMode: 1
; LDSByteSize: 24576 bytes/workgroup (compile time only)
; SGPRBlocks: 4
; VGPRBlocks: 5
; NumSGPRsForWavesPerEU: 38
; NumVGPRsForWavesPerEU: 41
; Occupancy: 16
; WaveLimiterHint : 0
; COMPUTE_PGM_RSRC2:SCRATCH_EN: 0
; COMPUTE_PGM_RSRC2:USER_SGPR: 14
; COMPUTE_PGM_RSRC2:TRAP_HANDLER: 0
; COMPUTE_PGM_RSRC2:TGID_X_EN: 1
; COMPUTE_PGM_RSRC2:TGID_Y_EN: 0
; COMPUTE_PGM_RSRC2:TGID_Z_EN: 1
; COMPUTE_PGM_RSRC2:TIDIG_COMP_CNT: 0
	.section	.text._ZN9rocsparseL28coommnn_general_block_reduceILj1024EiiiEEvT1_S1_PKS1_PKT0_PT2_ll16rocsparse_order_,"axG",@progbits,_ZN9rocsparseL28coommnn_general_block_reduceILj1024EiiiEEvT1_S1_PKS1_PKT0_PT2_ll16rocsparse_order_,comdat
	.globl	_ZN9rocsparseL28coommnn_general_block_reduceILj1024EiiiEEvT1_S1_PKS1_PKT0_PT2_ll16rocsparse_order_ ; -- Begin function _ZN9rocsparseL28coommnn_general_block_reduceILj1024EiiiEEvT1_S1_PKS1_PKT0_PT2_ll16rocsparse_order_
	.p2align	8
	.type	_ZN9rocsparseL28coommnn_general_block_reduceILj1024EiiiEEvT1_S1_PKS1_PKT0_PT2_ll16rocsparse_order_,@function
_ZN9rocsparseL28coommnn_general_block_reduceILj1024EiiiEEvT1_S1_PKS1_PKT0_PT2_ll16rocsparse_order_: ; @_ZN9rocsparseL28coommnn_general_block_reduceILj1024EiiiEEvT1_S1_PKS1_PKT0_PT2_ll16rocsparse_order_
; %bb.0:
	s_load_b64 s[12:13], s[0:1], 0x0
	s_waitcnt lgkmcnt(0)
	s_cmp_lt_i32 s13, 1
	s_cbranch_scc1 .LBB8_53
; %bb.1:
	s_clause 0x2
	s_load_b64 s[10:11], s[0:1], 0x28
	s_load_b32 s9, s[0:1], 0x30
	s_load_b256 s[16:23], s[0:1], 0x8
	s_mul_i32 s2, s15, s12
	s_mov_b32 s31, s15
	s_add_i32 s30, s2, s14
	v_dual_mov_b32 v4, 0 :: v_dual_lshlrev_b32 v7, 2, v0
	v_mad_u64_u32 v[1:2], null, s30, s13, v[0:1]
	v_cmp_ne_u32_e64 s0, 0, v0
	s_delay_alu instid0(VALU_DEP_3)
	v_or_b32_e32 v8, 0x1000, v7
	v_add_nc_u32_e32 v9, -4, v7
	v_add_nc_u32_e32 v10, 0xffc, v7
	v_cmp_lt_u32_e64 s1, 1, v0
	v_add_nc_u32_e32 v11, -8, v7
	v_mad_u64_u32 v[2:3], null, s31, s13, v[0:1]
	v_add_nc_u32_e32 v12, 0xff8, v7
	v_cmp_lt_u32_e64 s2, 3, v0
	v_add_nc_u32_e32 v13, -16, v7
	s_waitcnt lgkmcnt(0)
	s_cmp_lg_u32 s9, 1
	s_mul_i32 s9, s15, s11
	s_cselect_b32 s24, -1, 0
	s_mul_hi_u32 s11, s15, s10
	s_ashr_i32 s25, s15, 31
	s_ashr_i32 s15, s14, 31
	s_add_i32 s9, s11, s9
	s_mul_i32 s25, s25, s10
	s_lshl_b64 s[26:27], s[14:15], 2
	s_add_i32 s11, s9, s25
	s_mul_i32 s10, s31, s10
	s_add_u32 s25, s20, s26
	s_addc_u32 s26, s21, s27
	s_lshl_b64 s[28:29], s[10:11], 2
	s_mul_i32 s10, s14, s23
	s_mul_hi_u32 s11, s14, s22
	s_add_u32 s25, s25, s28
	s_addc_u32 s26, s26, s29
	s_add_i32 s10, s11, s10
	s_mul_i32 s11, s15, s22
	v_add_nc_u32_e32 v14, 0xff0, v7
	s_add_i32 s11, s10, s11
	s_mul_i32 s10, s14, s22
	v_cmp_lt_u32_e64 s3, 7, v0
	s_lshl_b64 s[14:15], s[10:11], 2
	v_subrev_nc_u32_e32 v15, 32, v7
	v_add_nc_u32_e32 v16, 0xfe0, v7
	v_cmp_lt_u32_e64 s4, 15, v0
	v_subrev_nc_u32_e32 v17, 64, v7
	v_add_nc_u32_e32 v18, 0xfc0, v7
	v_cmp_lt_u32_e64 s5, 31, v0
	v_add_nc_u32_e32 v19, 0xffffff80, v7
	v_add_nc_u32_e32 v20, 0xf80, v7
	v_cmp_lt_u32_e64 s6, 63, v0
	v_add_nc_u32_e32 v21, 0xffffff00, v7
	;; [unrolled: 3-line block ×5, first 2 shown]
	v_add_nc_u32_e32 v28, 0x800, v7
	v_cmp_ne_u32_e64 s10, 0x3ff, v0
	s_add_u32 s11, s20, s14
	s_addc_u32 s15, s21, s15
	s_add_u32 s14, s11, s28
	s_mov_b32 s12, 0
	s_addc_u32 s15, s15, s29
	s_branch .LBB8_4
.LBB8_2:                                ;   in Loop: Header=BB8_4 Depth=1
	global_load_b32 v3, v[5:6], off
	s_waitcnt vmcnt(0) lgkmcnt(0)
	v_add_nc_u32_e32 v3, v3, v29
	global_store_b32 v[5:6], v3, off
.LBB8_3:                                ;   in Loop: Header=BB8_4 Depth=1
	s_or_b32 exec_lo, exec_lo, s11
	s_addk_i32 s12, 0x400
	s_waitcnt_vscnt null, 0x0
	s_cmp_ge_i32 s12, s13
	s_barrier
	buffer_gl0_inv
	s_cbranch_scc1 .LBB8_53
.LBB8_4:                                ; =>This Inner Loop Header: Depth=1
	v_dual_mov_b32 v6, -1 :: v_dual_add_nc_u32 v3, s12, v0
	v_mov_b32_e32 v29, 0
	s_mov_b32 s11, exec_lo
	s_delay_alu instid0(VALU_DEP_2)
	v_cmpx_gt_i32_e64 s13, v3
	s_cbranch_execz .LBB8_6
; %bb.5:                                ;   in Loop: Header=BB8_4 Depth=1
	v_add_nc_u32_e32 v5, s12, v2
	v_add_nc_u32_e32 v29, s12, v1
	s_delay_alu instid0(VALU_DEP_2) | instskip(NEXT) | instid1(VALU_DEP_2)
	v_ashrrev_i32_e32 v6, 31, v5
	v_ashrrev_i32_e32 v30, 31, v29
	s_delay_alu instid0(VALU_DEP_2) | instskip(NEXT) | instid1(VALU_DEP_2)
	v_lshlrev_b64 v[5:6], 2, v[5:6]
	v_lshlrev_b64 v[29:30], 2, v[29:30]
	s_delay_alu instid0(VALU_DEP_2) | instskip(NEXT) | instid1(VALU_DEP_3)
	v_add_co_u32 v5, vcc_lo, s16, v5
	v_add_co_ci_u32_e32 v6, vcc_lo, s17, v6, vcc_lo
	s_delay_alu instid0(VALU_DEP_3) | instskip(NEXT) | instid1(VALU_DEP_4)
	v_add_co_u32 v29, vcc_lo, s18, v29
	v_add_co_ci_u32_e32 v30, vcc_lo, s19, v30, vcc_lo
	global_load_b32 v6, v[5:6], off
	global_load_b32 v29, v[29:30], off
.LBB8_6:                                ;   in Loop: Header=BB8_4 Depth=1
	s_or_b32 exec_lo, exec_lo, s11
	v_mov_b32_e32 v3, 0
	v_mov_b32_e32 v5, 0
	s_waitcnt vmcnt(1)
	ds_store_b32 v7, v6
	s_waitcnt vmcnt(0)
	ds_store_b32 v8, v29
	s_waitcnt lgkmcnt(0)
	s_barrier
	buffer_gl0_inv
	s_and_saveexec_b32 s11, s0
	s_cbranch_execz .LBB8_10
; %bb.7:                                ;   in Loop: Header=BB8_4 Depth=1
	ds_load_2addr_b32 v[5:6], v9 offset1:1
	s_waitcnt lgkmcnt(0)
	v_cmp_eq_u32_e32 vcc_lo, v6, v5
	v_mov_b32_e32 v5, 0
	s_and_saveexec_b32 s20, vcc_lo
	s_cbranch_execz .LBB8_9
; %bb.8:                                ;   in Loop: Header=BB8_4 Depth=1
	ds_load_b32 v5, v10
.LBB8_9:                                ;   in Loop: Header=BB8_4 Depth=1
	s_or_b32 exec_lo, exec_lo, s20
.LBB8_10:                               ;   in Loop: Header=BB8_4 Depth=1
	s_delay_alu instid0(SALU_CYCLE_1)
	s_or_b32 exec_lo, exec_lo, s11
	s_waitcnt lgkmcnt(0)
	s_barrier
	buffer_gl0_inv
	ds_load_b32 v6, v8
	s_waitcnt lgkmcnt(0)
	v_add_nc_u32_e32 v5, v6, v5
	ds_store_b32 v8, v5
	s_waitcnt lgkmcnt(0)
	s_barrier
	buffer_gl0_inv
	s_and_saveexec_b32 s11, s1
	s_cbranch_execz .LBB8_14
; %bb.11:                               ;   in Loop: Header=BB8_4 Depth=1
	ds_load_b32 v3, v7
	ds_load_b32 v5, v11
	s_waitcnt lgkmcnt(0)
	v_cmp_eq_u32_e32 vcc_lo, v3, v5
	v_mov_b32_e32 v3, 0
	s_and_saveexec_b32 s20, vcc_lo
	s_cbranch_execz .LBB8_13
; %bb.12:                               ;   in Loop: Header=BB8_4 Depth=1
	ds_load_b32 v3, v12
.LBB8_13:                               ;   in Loop: Header=BB8_4 Depth=1
	s_or_b32 exec_lo, exec_lo, s20
.LBB8_14:                               ;   in Loop: Header=BB8_4 Depth=1
	s_delay_alu instid0(SALU_CYCLE_1)
	s_or_b32 exec_lo, exec_lo, s11
	s_waitcnt lgkmcnt(0)
	s_barrier
	buffer_gl0_inv
	ds_load_b32 v5, v8
	s_waitcnt lgkmcnt(0)
	v_dual_mov_b32 v3, 0 :: v_dual_add_nc_u32 v6, v5, v3
	v_mov_b32_e32 v5, 0
	ds_store_b32 v8, v6
	s_waitcnt lgkmcnt(0)
	s_barrier
	buffer_gl0_inv
	s_and_saveexec_b32 s11, s2
	s_cbranch_execz .LBB8_18
; %bb.15:                               ;   in Loop: Header=BB8_4 Depth=1
	ds_load_b32 v5, v7
	ds_load_b32 v6, v13
	s_waitcnt lgkmcnt(0)
	v_cmp_eq_u32_e32 vcc_lo, v5, v6
	v_mov_b32_e32 v5, 0
	s_and_saveexec_b32 s20, vcc_lo
	s_cbranch_execz .LBB8_17
; %bb.16:                               ;   in Loop: Header=BB8_4 Depth=1
	ds_load_b32 v5, v14
.LBB8_17:                               ;   in Loop: Header=BB8_4 Depth=1
	s_or_b32 exec_lo, exec_lo, s20
.LBB8_18:                               ;   in Loop: Header=BB8_4 Depth=1
	s_delay_alu instid0(SALU_CYCLE_1)
	s_or_b32 exec_lo, exec_lo, s11
	s_waitcnt lgkmcnt(0)
	s_barrier
	buffer_gl0_inv
	ds_load_b32 v6, v8
	s_waitcnt lgkmcnt(0)
	v_add_nc_u32_e32 v5, v6, v5
	ds_store_b32 v8, v5
	s_waitcnt lgkmcnt(0)
	s_barrier
	buffer_gl0_inv
	s_and_saveexec_b32 s11, s3
	s_cbranch_execz .LBB8_22
; %bb.19:                               ;   in Loop: Header=BB8_4 Depth=1
	ds_load_b32 v3, v7
	ds_load_b32 v5, v15
	s_waitcnt lgkmcnt(0)
	v_cmp_eq_u32_e32 vcc_lo, v3, v5
	v_mov_b32_e32 v3, 0
	s_and_saveexec_b32 s20, vcc_lo
	s_cbranch_execz .LBB8_21
; %bb.20:                               ;   in Loop: Header=BB8_4 Depth=1
	ds_load_b32 v3, v16
.LBB8_21:                               ;   in Loop: Header=BB8_4 Depth=1
	s_or_b32 exec_lo, exec_lo, s20
.LBB8_22:                               ;   in Loop: Header=BB8_4 Depth=1
	s_delay_alu instid0(SALU_CYCLE_1)
	s_or_b32 exec_lo, exec_lo, s11
	s_waitcnt lgkmcnt(0)
	s_barrier
	buffer_gl0_inv
	ds_load_b32 v5, v8
	s_waitcnt lgkmcnt(0)
	v_dual_mov_b32 v3, 0 :: v_dual_add_nc_u32 v6, v5, v3
	v_mov_b32_e32 v5, 0
	ds_store_b32 v8, v6
	s_waitcnt lgkmcnt(0)
	s_barrier
	buffer_gl0_inv
	s_and_saveexec_b32 s11, s4
	s_cbranch_execz .LBB8_26
; %bb.23:                               ;   in Loop: Header=BB8_4 Depth=1
	ds_load_b32 v5, v7
	ds_load_b32 v6, v17
	s_waitcnt lgkmcnt(0)
	v_cmp_eq_u32_e32 vcc_lo, v5, v6
	v_mov_b32_e32 v5, 0
	s_and_saveexec_b32 s20, vcc_lo
	s_cbranch_execz .LBB8_25
; %bb.24:                               ;   in Loop: Header=BB8_4 Depth=1
	ds_load_b32 v5, v18
.LBB8_25:                               ;   in Loop: Header=BB8_4 Depth=1
	s_or_b32 exec_lo, exec_lo, s20
.LBB8_26:                               ;   in Loop: Header=BB8_4 Depth=1
	;; [unrolled: 55-line block ×4, first 2 shown]
	s_delay_alu instid0(SALU_CYCLE_1)
	s_or_b32 exec_lo, exec_lo, s11
	s_waitcnt lgkmcnt(0)
	s_barrier
	buffer_gl0_inv
	ds_load_b32 v6, v8
	s_waitcnt lgkmcnt(0)
	v_add_nc_u32_e32 v5, v6, v5
	ds_store_b32 v8, v5
	s_waitcnt lgkmcnt(0)
	s_barrier
	buffer_gl0_inv
	s_and_saveexec_b32 s11, s9
	s_cbranch_execz .LBB8_46
; %bb.43:                               ;   in Loop: Header=BB8_4 Depth=1
	ds_load_b32 v3, v7
	ds_load_b32 v5, v27
	s_waitcnt lgkmcnt(0)
	v_cmp_eq_u32_e32 vcc_lo, v3, v5
	v_mov_b32_e32 v3, 0
	s_and_saveexec_b32 s20, vcc_lo
	s_cbranch_execz .LBB8_45
; %bb.44:                               ;   in Loop: Header=BB8_4 Depth=1
	ds_load_b32 v3, v28
.LBB8_45:                               ;   in Loop: Header=BB8_4 Depth=1
	s_or_b32 exec_lo, exec_lo, s20
.LBB8_46:                               ;   in Loop: Header=BB8_4 Depth=1
	s_delay_alu instid0(SALU_CYCLE_1)
	s_or_b32 exec_lo, exec_lo, s11
	s_waitcnt lgkmcnt(0)
	s_barrier
	buffer_gl0_inv
	ds_load_b32 v5, v8
	s_waitcnt lgkmcnt(0)
	v_add_nc_u32_e32 v3, v5, v3
	v_mov_b32_e32 v5, -1
	ds_store_b32 v8, v3
	s_waitcnt lgkmcnt(0)
	s_barrier
	buffer_gl0_inv
	ds_load_b32 v3, v7
	s_and_saveexec_b32 s11, s10
	s_cbranch_execz .LBB8_48
; %bb.47:                               ;   in Loop: Header=BB8_4 Depth=1
	ds_load_b32 v5, v7 offset:4
.LBB8_48:                               ;   in Loop: Header=BB8_4 Depth=1
	s_or_b32 exec_lo, exec_lo, s11
	s_waitcnt lgkmcnt(0)
	v_cmp_ne_u32_e32 vcc_lo, v3, v5
	v_cmp_lt_i32_e64 s11, -1, v3
	s_delay_alu instid0(VALU_DEP_1) | instskip(NEXT) | instid1(SALU_CYCLE_1)
	s_and_b32 s20, s11, vcc_lo
	s_and_saveexec_b32 s11, s20
	s_cbranch_execz .LBB8_3
; %bb.49:                               ;   in Loop: Header=BB8_4 Depth=1
	ds_load_b32 v29, v8
	s_and_b32 vcc_lo, exec_lo, s24
	s_cbranch_vccz .LBB8_51
; %bb.50:                               ;   in Loop: Header=BB8_4 Depth=1
	v_mad_u64_u32 v[5:6], null, v3, s22, 0
	s_delay_alu instid0(VALU_DEP_1) | instskip(NEXT) | instid1(VALU_DEP_1)
	v_mad_u64_u32 v[30:31], null, v3, s23, v[6:7]
	v_mov_b32_e32 v6, v30
	s_delay_alu instid0(VALU_DEP_1) | instskip(NEXT) | instid1(VALU_DEP_1)
	v_lshlrev_b64 v[5:6], 2, v[5:6]
	v_add_co_u32 v5, vcc_lo, s25, v5
	s_delay_alu instid0(VALU_DEP_2)
	v_add_co_ci_u32_e32 v6, vcc_lo, s26, v6, vcc_lo
	s_cbranch_execnz .LBB8_2
	s_branch .LBB8_52
.LBB8_51:                               ;   in Loop: Header=BB8_4 Depth=1
                                        ; implicit-def: $vgpr5_vgpr6
.LBB8_52:                               ;   in Loop: Header=BB8_4 Depth=1
	v_lshlrev_b64 v[5:6], 2, v[3:4]
	s_delay_alu instid0(VALU_DEP_1) | instskip(NEXT) | instid1(VALU_DEP_2)
	v_add_co_u32 v5, vcc_lo, s14, v5
	v_add_co_ci_u32_e32 v6, vcc_lo, s15, v6, vcc_lo
	s_branch .LBB8_2
.LBB8_53:
	s_endpgm
	.section	.rodata,"a",@progbits
	.p2align	6, 0x0
	.amdhsa_kernel _ZN9rocsparseL28coommnn_general_block_reduceILj1024EiiiEEvT1_S1_PKS1_PKT0_PT2_ll16rocsparse_order_
		.amdhsa_group_segment_fixed_size 8192
		.amdhsa_private_segment_fixed_size 0
		.amdhsa_kernarg_size 52
		.amdhsa_user_sgpr_count 14
		.amdhsa_user_sgpr_dispatch_ptr 0
		.amdhsa_user_sgpr_queue_ptr 0
		.amdhsa_user_sgpr_kernarg_segment_ptr 1
		.amdhsa_user_sgpr_dispatch_id 0
		.amdhsa_user_sgpr_private_segment_size 0
		.amdhsa_wavefront_size32 1
		.amdhsa_uses_dynamic_stack 0
		.amdhsa_enable_private_segment 0
		.amdhsa_system_sgpr_workgroup_id_x 1
		.amdhsa_system_sgpr_workgroup_id_y 0
		.amdhsa_system_sgpr_workgroup_id_z 1
		.amdhsa_system_sgpr_workgroup_info 0
		.amdhsa_system_vgpr_workitem_id 0
		.amdhsa_next_free_vgpr 32
		.amdhsa_next_free_sgpr 32
		.amdhsa_reserve_vcc 1
		.amdhsa_float_round_mode_32 0
		.amdhsa_float_round_mode_16_64 0
		.amdhsa_float_denorm_mode_32 3
		.amdhsa_float_denorm_mode_16_64 3
		.amdhsa_dx10_clamp 1
		.amdhsa_ieee_mode 1
		.amdhsa_fp16_overflow 0
		.amdhsa_workgroup_processor_mode 1
		.amdhsa_memory_ordered 1
		.amdhsa_forward_progress 0
		.amdhsa_shared_vgpr_count 0
		.amdhsa_exception_fp_ieee_invalid_op 0
		.amdhsa_exception_fp_denorm_src 0
		.amdhsa_exception_fp_ieee_div_zero 0
		.amdhsa_exception_fp_ieee_overflow 0
		.amdhsa_exception_fp_ieee_underflow 0
		.amdhsa_exception_fp_ieee_inexact 0
		.amdhsa_exception_int_div_zero 0
	.end_amdhsa_kernel
	.section	.text._ZN9rocsparseL28coommnn_general_block_reduceILj1024EiiiEEvT1_S1_PKS1_PKT0_PT2_ll16rocsparse_order_,"axG",@progbits,_ZN9rocsparseL28coommnn_general_block_reduceILj1024EiiiEEvT1_S1_PKS1_PKT0_PT2_ll16rocsparse_order_,comdat
.Lfunc_end8:
	.size	_ZN9rocsparseL28coommnn_general_block_reduceILj1024EiiiEEvT1_S1_PKS1_PKT0_PT2_ll16rocsparse_order_, .Lfunc_end8-_ZN9rocsparseL28coommnn_general_block_reduceILj1024EiiiEEvT1_S1_PKS1_PKT0_PT2_ll16rocsparse_order_
                                        ; -- End function
	.section	.AMDGPU.csdata,"",@progbits
; Kernel info:
; codeLenInByte = 2084
; NumSgprs: 34
; NumVgprs: 32
; ScratchSize: 0
; MemoryBound: 0
; FloatMode: 240
; IeeeMode: 1
; LDSByteSize: 8192 bytes/workgroup (compile time only)
; SGPRBlocks: 4
; VGPRBlocks: 3
; NumSGPRsForWavesPerEU: 34
; NumVGPRsForWavesPerEU: 32
; Occupancy: 16
; WaveLimiterHint : 0
; COMPUTE_PGM_RSRC2:SCRATCH_EN: 0
; COMPUTE_PGM_RSRC2:USER_SGPR: 14
; COMPUTE_PGM_RSRC2:TRAP_HANDLER: 0
; COMPUTE_PGM_RSRC2:TGID_X_EN: 1
; COMPUTE_PGM_RSRC2:TGID_Y_EN: 0
; COMPUTE_PGM_RSRC2:TGID_Z_EN: 1
; COMPUTE_PGM_RSRC2:TIDIG_COMP_CNT: 0
	.section	.text._ZN9rocsparseL28coommnn_general_block_reduceILj1024EiliEEvT1_S1_PKS1_PKT0_PT2_ll16rocsparse_order_,"axG",@progbits,_ZN9rocsparseL28coommnn_general_block_reduceILj1024EiliEEvT1_S1_PKS1_PKT0_PT2_ll16rocsparse_order_,comdat
	.globl	_ZN9rocsparseL28coommnn_general_block_reduceILj1024EiliEEvT1_S1_PKS1_PKT0_PT2_ll16rocsparse_order_ ; -- Begin function _ZN9rocsparseL28coommnn_general_block_reduceILj1024EiliEEvT1_S1_PKS1_PKT0_PT2_ll16rocsparse_order_
	.p2align	8
	.type	_ZN9rocsparseL28coommnn_general_block_reduceILj1024EiliEEvT1_S1_PKS1_PKT0_PT2_ll16rocsparse_order_,@function
_ZN9rocsparseL28coommnn_general_block_reduceILj1024EiliEEvT1_S1_PKS1_PKT0_PT2_ll16rocsparse_order_: ; @_ZN9rocsparseL28coommnn_general_block_reduceILj1024EiliEEvT1_S1_PKS1_PKT0_PT2_ll16rocsparse_order_
; %bb.0:
	s_load_b128 s[24:27], s[0:1], 0x0
	s_waitcnt lgkmcnt(0)
	v_cmp_lt_i64_e64 s2, s[26:27], 1
	s_delay_alu instid0(VALU_DEP_1)
	s_and_b32 vcc_lo, exec_lo, s2
	s_cbranch_vccnz .LBB9_53
; %bb.1:
	s_clause 0x2
	s_load_b256 s[16:23], s[0:1], 0x10
	s_load_b64 s[8:9], s[0:1], 0x30
	s_load_b32 s7, s[0:1], 0x38
	s_mov_b32 s10, s15
	s_mov_b32 s15, 0
	v_lshlrev_b32_e32 v1, 2, v0
	s_lshl_b64 s[12:13], s[14:15], 2
	v_lshlrev_b32_e32 v9, 3, v0
	v_cmp_ne_u32_e64 s0, 0, v0
	v_cmp_lt_u32_e64 s1, 1, v0
	v_or_b32_e32 v10, 0x2000, v1
	v_add_nc_u32_e32 v12, 0x1ffc, v1
	v_add_nc_u32_e32 v14, 0x1ff8, v1
	;; [unrolled: 1-line block ×9, first 2 shown]
	s_waitcnt lgkmcnt(0)
	s_add_u32 s11, s20, s12
	s_addc_u32 s29, s21, s13
	s_ashr_i32 s33, s10, 31
	s_cmp_lg_u32 s7, 1
	s_mul_i32 s7, s10, s9
	s_mul_hi_u32 s9, s10, s8
	s_cselect_b32 s15, -1, 0
	s_add_i32 s7, s9, s7
	s_mul_i32 s9, s33, s8
	s_mul_i32 s8, s10, s8
	s_add_i32 s9, s7, s9
	s_mul_hi_u32 s30, s14, s22
	s_lshl_b64 s[8:9], s[8:9], 2
	v_add_nc_u32_e32 v30, 0x1800, v1
	s_add_u32 s28, s11, s8
	s_mul_i32 s11, s14, s23
	s_addc_u32 s29, s29, s9
	s_add_i32 s31, s30, s11
	s_mul_i32 s30, s14, s22
	v_cmp_lt_u32_e64 s2, 3, v0
	s_lshl_b64 s[30:31], s[30:31], 2
	v_cmp_lt_u32_e64 s3, 7, v0
	s_add_u32 s11, s20, s30
	s_addc_u32 s20, s21, s31
	s_add_u32 s14, s11, s8
	s_mul_hi_u32 s8, s24, s10
	s_mul_i32 s11, s24, s33
	s_addc_u32 s20, s20, s9
	s_add_i32 s9, s8, s11
	s_mul_i32 s11, s25, s10
	s_mul_i32 s24, s24, s10
	s_add_i32 s25, s9, s11
	v_add_nc_u32_e32 v11, -8, v9
	s_lshl_b64 s[24:25], s[24:25], 2
	v_add_nc_u32_e32 v13, -16, v9
	s_add_u32 s11, s24, s12
	s_addc_u32 s12, s25, s13
	s_mul_hi_u32 s13, s26, s11
	s_mul_i32 s12, s26, s12
	v_subrev_nc_u32_e32 v15, 32, v9
	s_add_i32 s12, s13, s12
	s_mul_i32 s13, s27, s11
	s_mul_i32 s11, s26, s11
	s_add_i32 s12, s12, s13
	s_add_u32 s11, s18, s11
	s_mul_hi_u32 s13, s26, s10
	s_mul_i32 s18, s26, s33
	s_addc_u32 s19, s19, s12
	s_add_i32 s12, s13, s18
	s_mul_i32 s13, s27, s10
	v_add_co_u32 v1, s11, s11, v1
	s_add_i32 s13, s12, s13
	s_mul_i32 s12, s26, s10
	v_add_co_ci_u32_e64 v2, null, s19, 0, s11
	s_lshl_b64 s[12:13], s[12:13], 3
	v_subrev_nc_u32_e32 v17, 64, v9
	s_add_u32 s11, s16, s12
	s_addc_u32 s12, s17, s13
	v_add_co_u32 v3, s11, s11, v9
	v_cmp_lt_u32_e64 s4, 15, v0
	v_add_nc_u32_e32 v19, 0xffffff80, v9
	v_cmp_lt_u32_e64 s5, 31, v0
	v_add_nc_u32_e32 v21, 0xffffff00, v9
	;; [unrolled: 2-line block ×6, first 2 shown]
	v_cmp_ne_u32_e64 s10, 0x3ff, v0
	v_add_co_ci_u32_e64 v4, null, s12, 0, s11
	s_mov_b64 s[12:13], 0
	s_branch .LBB9_4
.LBB9_2:                                ;   in Loop: Header=BB9_4 Depth=1
	global_load_b32 v5, v[7:8], off
	s_waitcnt vmcnt(0) lgkmcnt(0)
	v_add_nc_u32_e32 v5, v5, v31
	global_store_b32 v[7:8], v5, off
.LBB9_3:                                ;   in Loop: Header=BB9_4 Depth=1
	s_or_b32 exec_lo, exec_lo, s11
	s_add_u32 s12, s12, 0x400
	s_addc_u32 s13, s13, 0
	v_add_co_u32 v1, vcc_lo, 0x1000, v1
	v_cmp_ge_i64_e64 s11, s[12:13], s[26:27]
	v_add_co_ci_u32_e32 v2, vcc_lo, 0, v2, vcc_lo
	v_add_co_u32 v3, vcc_lo, 0x2000, v3
	v_add_co_ci_u32_e32 v4, vcc_lo, 0, v4, vcc_lo
	s_delay_alu instid0(VALU_DEP_4)
	s_and_b32 vcc_lo, exec_lo, s11
	s_waitcnt_vscnt null, 0x0
	s_barrier
	buffer_gl0_inv
	s_cbranch_vccnz .LBB9_53
.LBB9_4:                                ; =>This Inner Loop Header: Depth=1
	v_add_co_u32 v5, s11, v0, s12
	s_delay_alu instid0(VALU_DEP_1) | instskip(SKIP_1) | instid1(VALU_DEP_2)
	v_add_co_ci_u32_e64 v6, null, 0, s13, s11
	v_mov_b32_e32 v8, 0
	v_cmp_gt_i64_e32 vcc_lo, s[26:27], v[5:6]
	v_mov_b32_e32 v5, -1
	v_mov_b32_e32 v6, -1
	s_and_saveexec_b32 s11, vcc_lo
	s_cbranch_execz .LBB9_6
; %bb.5:                                ;   in Loop: Header=BB9_4 Depth=1
	global_load_b64 v[5:6], v[3:4], off
	global_load_b32 v8, v[1:2], off
.LBB9_6:                                ;   in Loop: Header=BB9_4 Depth=1
	s_or_b32 exec_lo, exec_lo, s11
	v_mov_b32_e32 v7, 0
	s_waitcnt vmcnt(1)
	ds_store_b64 v9, v[5:6]
	s_waitcnt vmcnt(0)
	ds_store_b32 v10, v8
	s_waitcnt lgkmcnt(0)
	s_barrier
	buffer_gl0_inv
	s_and_saveexec_b32 s11, s0
	s_cbranch_execz .LBB9_10
; %bb.7:                                ;   in Loop: Header=BB9_4 Depth=1
	ds_load_2addr_b64 v[5:8], v11 offset1:1
	s_waitcnt lgkmcnt(0)
	v_cmp_eq_u64_e32 vcc_lo, v[7:8], v[5:6]
	v_mov_b32_e32 v7, 0
	s_and_saveexec_b32 s16, vcc_lo
	s_cbranch_execz .LBB9_9
; %bb.8:                                ;   in Loop: Header=BB9_4 Depth=1
	ds_load_b32 v7, v12
.LBB9_9:                                ;   in Loop: Header=BB9_4 Depth=1
	s_or_b32 exec_lo, exec_lo, s16
.LBB9_10:                               ;   in Loop: Header=BB9_4 Depth=1
	s_delay_alu instid0(SALU_CYCLE_1)
	s_or_b32 exec_lo, exec_lo, s11
	s_waitcnt lgkmcnt(0)
	s_barrier
	buffer_gl0_inv
	ds_load_b32 v5, v10
	s_waitcnt lgkmcnt(0)
	v_dual_mov_b32 v6, 0 :: v_dual_add_nc_u32 v7, v5, v7
	v_mov_b32_e32 v5, 0
	ds_store_b32 v10, v7
	s_waitcnt lgkmcnt(0)
	s_barrier
	buffer_gl0_inv
	s_and_saveexec_b32 s11, s1
	s_cbranch_execz .LBB9_14
; %bb.11:                               ;   in Loop: Header=BB9_4 Depth=1
	ds_load_b64 v[6:7], v9
	ds_load_b64 v[31:32], v13
	s_waitcnt lgkmcnt(0)
	v_cmp_eq_u64_e32 vcc_lo, v[6:7], v[31:32]
	v_mov_b32_e32 v6, 0
	s_and_saveexec_b32 s16, vcc_lo
	s_cbranch_execz .LBB9_13
; %bb.12:                               ;   in Loop: Header=BB9_4 Depth=1
	ds_load_b32 v6, v14
.LBB9_13:                               ;   in Loop: Header=BB9_4 Depth=1
	s_or_b32 exec_lo, exec_lo, s16
.LBB9_14:                               ;   in Loop: Header=BB9_4 Depth=1
	s_delay_alu instid0(SALU_CYCLE_1)
	s_or_b32 exec_lo, exec_lo, s11
	s_waitcnt lgkmcnt(0)
	s_barrier
	buffer_gl0_inv
	ds_load_b32 v7, v10
	s_waitcnt lgkmcnt(0)
	v_add_nc_u32_e32 v6, v7, v6
	ds_store_b32 v10, v6
	s_waitcnt lgkmcnt(0)
	s_barrier
	buffer_gl0_inv
	s_and_saveexec_b32 s11, s2
	s_cbranch_execz .LBB9_18
; %bb.15:                               ;   in Loop: Header=BB9_4 Depth=1
	ds_load_b64 v[5:6], v9
	ds_load_b64 v[7:8], v15
	s_waitcnt lgkmcnt(0)
	v_cmp_eq_u64_e32 vcc_lo, v[5:6], v[7:8]
	v_mov_b32_e32 v5, 0
	s_and_saveexec_b32 s16, vcc_lo
	s_cbranch_execz .LBB9_17
; %bb.16:                               ;   in Loop: Header=BB9_4 Depth=1
	ds_load_b32 v5, v16
.LBB9_17:                               ;   in Loop: Header=BB9_4 Depth=1
	s_or_b32 exec_lo, exec_lo, s16
.LBB9_18:                               ;   in Loop: Header=BB9_4 Depth=1
	s_delay_alu instid0(SALU_CYCLE_1)
	s_or_b32 exec_lo, exec_lo, s11
	s_waitcnt lgkmcnt(0)
	s_barrier
	buffer_gl0_inv
	ds_load_b32 v6, v10
	s_waitcnt lgkmcnt(0)
	v_dual_mov_b32 v6, 0 :: v_dual_add_nc_u32 v7, v6, v5
	v_mov_b32_e32 v5, 0
	ds_store_b32 v10, v7
	s_waitcnt lgkmcnt(0)
	s_barrier
	buffer_gl0_inv
	s_and_saveexec_b32 s11, s3
	s_cbranch_execz .LBB9_22
; %bb.19:                               ;   in Loop: Header=BB9_4 Depth=1
	ds_load_b64 v[6:7], v9
	ds_load_b64 v[31:32], v17
	s_waitcnt lgkmcnt(0)
	v_cmp_eq_u64_e32 vcc_lo, v[6:7], v[31:32]
	v_mov_b32_e32 v6, 0
	s_and_saveexec_b32 s16, vcc_lo
	s_cbranch_execz .LBB9_21
; %bb.20:                               ;   in Loop: Header=BB9_4 Depth=1
	ds_load_b32 v6, v18
.LBB9_21:                               ;   in Loop: Header=BB9_4 Depth=1
	s_or_b32 exec_lo, exec_lo, s16
.LBB9_22:                               ;   in Loop: Header=BB9_4 Depth=1
	s_delay_alu instid0(SALU_CYCLE_1)
	s_or_b32 exec_lo, exec_lo, s11
	s_waitcnt lgkmcnt(0)
	s_barrier
	buffer_gl0_inv
	ds_load_b32 v7, v10
	s_waitcnt lgkmcnt(0)
	v_add_nc_u32_e32 v6, v7, v6
	ds_store_b32 v10, v6
	s_waitcnt lgkmcnt(0)
	s_barrier
	buffer_gl0_inv
	s_and_saveexec_b32 s11, s4
	s_cbranch_execz .LBB9_26
; %bb.23:                               ;   in Loop: Header=BB9_4 Depth=1
	ds_load_b64 v[5:6], v9
	ds_load_b64 v[7:8], v19
	s_waitcnt lgkmcnt(0)
	v_cmp_eq_u64_e32 vcc_lo, v[5:6], v[7:8]
	v_mov_b32_e32 v5, 0
	s_and_saveexec_b32 s16, vcc_lo
	s_cbranch_execz .LBB9_25
; %bb.24:                               ;   in Loop: Header=BB9_4 Depth=1
	ds_load_b32 v5, v20
.LBB9_25:                               ;   in Loop: Header=BB9_4 Depth=1
	s_or_b32 exec_lo, exec_lo, s16
.LBB9_26:                               ;   in Loop: Header=BB9_4 Depth=1
	;; [unrolled: 55-line block ×4, first 2 shown]
	s_delay_alu instid0(SALU_CYCLE_1)
	s_or_b32 exec_lo, exec_lo, s11
	s_waitcnt lgkmcnt(0)
	s_barrier
	buffer_gl0_inv
	ds_load_b32 v6, v10
	s_waitcnt lgkmcnt(0)
	v_dual_mov_b32 v5, 0 :: v_dual_add_nc_u32 v6, v6, v5
	ds_store_b32 v10, v6
	s_waitcnt lgkmcnt(0)
	s_barrier
	buffer_gl0_inv
	s_and_saveexec_b32 s11, s9
	s_cbranch_execz .LBB9_46
; %bb.43:                               ;   in Loop: Header=BB9_4 Depth=1
	ds_load_b64 v[5:6], v9
	ds_load_b64 v[7:8], v29
	s_waitcnt lgkmcnt(0)
	v_cmp_eq_u64_e32 vcc_lo, v[5:6], v[7:8]
	v_mov_b32_e32 v5, 0
	s_and_saveexec_b32 s16, vcc_lo
	s_cbranch_execz .LBB9_45
; %bb.44:                               ;   in Loop: Header=BB9_4 Depth=1
	ds_load_b32 v5, v30
.LBB9_45:                               ;   in Loop: Header=BB9_4 Depth=1
	s_or_b32 exec_lo, exec_lo, s16
.LBB9_46:                               ;   in Loop: Header=BB9_4 Depth=1
	s_delay_alu instid0(SALU_CYCLE_1)
	s_or_b32 exec_lo, exec_lo, s11
	s_waitcnt lgkmcnt(0)
	s_barrier
	buffer_gl0_inv
	ds_load_b32 v6, v10
	v_mov_b32_e32 v7, -1
	s_waitcnt lgkmcnt(0)
	v_dual_mov_b32 v8, -1 :: v_dual_add_nc_u32 v5, v6, v5
	ds_store_b32 v10, v5
	s_waitcnt lgkmcnt(0)
	s_barrier
	buffer_gl0_inv
	ds_load_b64 v[5:6], v9
	s_and_saveexec_b32 s11, s10
	s_cbranch_execz .LBB9_48
; %bb.47:                               ;   in Loop: Header=BB9_4 Depth=1
	ds_load_b64 v[7:8], v9 offset:8
.LBB9_48:                               ;   in Loop: Header=BB9_4 Depth=1
	s_or_b32 exec_lo, exec_lo, s11
	s_waitcnt lgkmcnt(0)
	v_cmp_ne_u64_e32 vcc_lo, v[5:6], v[7:8]
	v_cmp_lt_i64_e64 s11, -1, v[5:6]
	s_delay_alu instid0(VALU_DEP_1) | instskip(NEXT) | instid1(SALU_CYCLE_1)
	s_and_b32 s16, s11, vcc_lo
	s_and_saveexec_b32 s11, s16
	s_cbranch_execz .LBB9_3
; %bb.49:                               ;   in Loop: Header=BB9_4 Depth=1
	ds_load_b32 v31, v10
	s_and_b32 vcc_lo, exec_lo, s15
	s_cbranch_vccz .LBB9_51
; %bb.50:                               ;   in Loop: Header=BB9_4 Depth=1
	v_mul_lo_u32 v32, v6, s22
	v_mul_lo_u32 v33, v5, s23
	v_mad_u64_u32 v[7:8], null, v5, s22, 0
	s_delay_alu instid0(VALU_DEP_1) | instskip(NEXT) | instid1(VALU_DEP_1)
	v_add3_u32 v8, v8, v33, v32
	v_lshlrev_b64 v[7:8], 2, v[7:8]
	s_delay_alu instid0(VALU_DEP_1) | instskip(NEXT) | instid1(VALU_DEP_2)
	v_add_co_u32 v7, vcc_lo, s28, v7
	v_add_co_ci_u32_e32 v8, vcc_lo, s29, v8, vcc_lo
	s_cbranch_execnz .LBB9_2
	s_branch .LBB9_52
.LBB9_51:                               ;   in Loop: Header=BB9_4 Depth=1
                                        ; implicit-def: $vgpr7_vgpr8
.LBB9_52:                               ;   in Loop: Header=BB9_4 Depth=1
	v_lshlrev_b64 v[5:6], 2, v[5:6]
	s_delay_alu instid0(VALU_DEP_1) | instskip(NEXT) | instid1(VALU_DEP_2)
	v_add_co_u32 v7, vcc_lo, s14, v5
	v_add_co_ci_u32_e32 v8, vcc_lo, s20, v6, vcc_lo
	s_branch .LBB9_2
.LBB9_53:
	s_endpgm
	.section	.rodata,"a",@progbits
	.p2align	6, 0x0
	.amdhsa_kernel _ZN9rocsparseL28coommnn_general_block_reduceILj1024EiliEEvT1_S1_PKS1_PKT0_PT2_ll16rocsparse_order_
		.amdhsa_group_segment_fixed_size 12288
		.amdhsa_private_segment_fixed_size 0
		.amdhsa_kernarg_size 60
		.amdhsa_user_sgpr_count 14
		.amdhsa_user_sgpr_dispatch_ptr 0
		.amdhsa_user_sgpr_queue_ptr 0
		.amdhsa_user_sgpr_kernarg_segment_ptr 1
		.amdhsa_user_sgpr_dispatch_id 0
		.amdhsa_user_sgpr_private_segment_size 0
		.amdhsa_wavefront_size32 1
		.amdhsa_uses_dynamic_stack 0
		.amdhsa_enable_private_segment 0
		.amdhsa_system_sgpr_workgroup_id_x 1
		.amdhsa_system_sgpr_workgroup_id_y 0
		.amdhsa_system_sgpr_workgroup_id_z 1
		.amdhsa_system_sgpr_workgroup_info 0
		.amdhsa_system_vgpr_workitem_id 0
		.amdhsa_next_free_vgpr 34
		.amdhsa_next_free_sgpr 34
		.amdhsa_reserve_vcc 1
		.amdhsa_float_round_mode_32 0
		.amdhsa_float_round_mode_16_64 0
		.amdhsa_float_denorm_mode_32 3
		.amdhsa_float_denorm_mode_16_64 3
		.amdhsa_dx10_clamp 1
		.amdhsa_ieee_mode 1
		.amdhsa_fp16_overflow 0
		.amdhsa_workgroup_processor_mode 1
		.amdhsa_memory_ordered 1
		.amdhsa_forward_progress 0
		.amdhsa_shared_vgpr_count 0
		.amdhsa_exception_fp_ieee_invalid_op 0
		.amdhsa_exception_fp_denorm_src 0
		.amdhsa_exception_fp_ieee_div_zero 0
		.amdhsa_exception_fp_ieee_overflow 0
		.amdhsa_exception_fp_ieee_underflow 0
		.amdhsa_exception_fp_ieee_inexact 0
		.amdhsa_exception_int_div_zero 0
	.end_amdhsa_kernel
	.section	.text._ZN9rocsparseL28coommnn_general_block_reduceILj1024EiliEEvT1_S1_PKS1_PKT0_PT2_ll16rocsparse_order_,"axG",@progbits,_ZN9rocsparseL28coommnn_general_block_reduceILj1024EiliEEvT1_S1_PKS1_PKT0_PT2_ll16rocsparse_order_,comdat
.Lfunc_end9:
	.size	_ZN9rocsparseL28coommnn_general_block_reduceILj1024EiliEEvT1_S1_PKS1_PKT0_PT2_ll16rocsparse_order_, .Lfunc_end9-_ZN9rocsparseL28coommnn_general_block_reduceILj1024EiliEEvT1_S1_PKS1_PKT0_PT2_ll16rocsparse_order_
                                        ; -- End function
	.section	.AMDGPU.csdata,"",@progbits
; Kernel info:
; codeLenInByte = 2204
; NumSgprs: 36
; NumVgprs: 34
; ScratchSize: 0
; MemoryBound: 0
; FloatMode: 240
; IeeeMode: 1
; LDSByteSize: 12288 bytes/workgroup (compile time only)
; SGPRBlocks: 4
; VGPRBlocks: 4
; NumSGPRsForWavesPerEU: 36
; NumVGPRsForWavesPerEU: 34
; Occupancy: 16
; WaveLimiterHint : 0
; COMPUTE_PGM_RSRC2:SCRATCH_EN: 0
; COMPUTE_PGM_RSRC2:USER_SGPR: 14
; COMPUTE_PGM_RSRC2:TRAP_HANDLER: 0
; COMPUTE_PGM_RSRC2:TGID_X_EN: 1
; COMPUTE_PGM_RSRC2:TGID_Y_EN: 0
; COMPUTE_PGM_RSRC2:TGID_Z_EN: 1
; COMPUTE_PGM_RSRC2:TIDIG_COMP_CNT: 0
	.text
	.p2alignl 7, 3214868480
	.fill 96, 4, 3214868480
	.type	__hip_cuid_c154feb2582ca8b2,@object ; @__hip_cuid_c154feb2582ca8b2
	.section	.bss,"aw",@nobits
	.globl	__hip_cuid_c154feb2582ca8b2
__hip_cuid_c154feb2582ca8b2:
	.byte	0                               ; 0x0
	.size	__hip_cuid_c154feb2582ca8b2, 1

	.ident	"AMD clang version 19.0.0git (https://github.com/RadeonOpenCompute/llvm-project roc-6.4.0 25133 c7fe45cf4b819c5991fe208aaa96edf142730f1d)"
	.section	".note.GNU-stack","",@progbits
	.addrsig
	.addrsig_sym __hip_cuid_c154feb2582ca8b2
	.amdgpu_metadata
---
amdhsa.kernels:
  - .args:
      - .offset:         0
        .size:           4
        .value_kind:     by_value
      - .offset:         4
        .size:           4
        .value_kind:     by_value
      - .actual_access:  read_only
        .address_space:  global
        .offset:         8
        .size:           8
        .value_kind:     global_buffer
      - .actual_access:  read_only
        .address_space:  global
        .offset:         16
        .size:           8
        .value_kind:     global_buffer
      - .address_space:  global
        .offset:         24
        .size:           8
        .value_kind:     global_buffer
      - .offset:         32
        .size:           8
        .value_kind:     by_value
      - .offset:         40
        .size:           8
        .value_kind:     by_value
      - .offset:         48
        .size:           4
        .value_kind:     by_value
    .group_segment_fixed_size: 8192
    .kernarg_segment_align: 8
    .kernarg_segment_size: 52
    .language:       OpenCL C
    .language_version:
      - 2
      - 0
    .max_flat_workgroup_size: 1024
    .name:           _ZN9rocsparseL28coommnn_general_block_reduceILj1024EfifEEvT1_S1_PKS1_PKT0_PT2_ll16rocsparse_order_
    .private_segment_fixed_size: 0
    .sgpr_count:     34
    .sgpr_spill_count: 0
    .symbol:         _ZN9rocsparseL28coommnn_general_block_reduceILj1024EfifEEvT1_S1_PKS1_PKT0_PT2_ll16rocsparse_order_.kd
    .uniform_work_group_size: 1
    .uses_dynamic_stack: false
    .vgpr_count:     32
    .vgpr_spill_count: 0
    .wavefront_size: 32
    .workgroup_processor_mode: 1
  - .args:
      - .offset:         0
        .size:           8
        .value_kind:     by_value
      - .offset:         8
        .size:           8
        .value_kind:     by_value
      - .actual_access:  read_only
        .address_space:  global
        .offset:         16
        .size:           8
        .value_kind:     global_buffer
      - .actual_access:  read_only
        .address_space:  global
        .offset:         24
        .size:           8
        .value_kind:     global_buffer
      - .address_space:  global
        .offset:         32
        .size:           8
        .value_kind:     global_buffer
      - .offset:         40
        .size:           8
        .value_kind:     by_value
      - .offset:         48
        .size:           8
        .value_kind:     by_value
      - .offset:         56
        .size:           4
        .value_kind:     by_value
    .group_segment_fixed_size: 12288
    .kernarg_segment_align: 8
    .kernarg_segment_size: 60
    .language:       OpenCL C
    .language_version:
      - 2
      - 0
    .max_flat_workgroup_size: 1024
    .name:           _ZN9rocsparseL28coommnn_general_block_reduceILj1024EflfEEvT1_S1_PKS1_PKT0_PT2_ll16rocsparse_order_
    .private_segment_fixed_size: 0
    .sgpr_count:     36
    .sgpr_spill_count: 0
    .symbol:         _ZN9rocsparseL28coommnn_general_block_reduceILj1024EflfEEvT1_S1_PKS1_PKT0_PT2_ll16rocsparse_order_.kd
    .uniform_work_group_size: 1
    .uses_dynamic_stack: false
    .vgpr_count:     34
    .vgpr_spill_count: 0
    .wavefront_size: 32
    .workgroup_processor_mode: 1
  - .args:
      - .offset:         0
        .size:           4
        .value_kind:     by_value
      - .offset:         4
        .size:           4
        .value_kind:     by_value
      - .actual_access:  read_only
        .address_space:  global
        .offset:         8
        .size:           8
        .value_kind:     global_buffer
      - .actual_access:  read_only
        .address_space:  global
        .offset:         16
        .size:           8
        .value_kind:     global_buffer
      - .address_space:  global
        .offset:         24
        .size:           8
        .value_kind:     global_buffer
      - .offset:         32
        .size:           8
        .value_kind:     by_value
      - .offset:         40
        .size:           8
        .value_kind:     by_value
      - .offset:         48
        .size:           4
        .value_kind:     by_value
    .group_segment_fixed_size: 12288
    .kernarg_segment_align: 8
    .kernarg_segment_size: 52
    .language:       OpenCL C
    .language_version:
      - 2
      - 0
    .max_flat_workgroup_size: 1024
    .name:           _ZN9rocsparseL28coommnn_general_block_reduceILj1024EdidEEvT1_S1_PKS1_PKT0_PT2_ll16rocsparse_order_
    .private_segment_fixed_size: 0
    .sgpr_count:     34
    .sgpr_spill_count: 0
    .symbol:         _ZN9rocsparseL28coommnn_general_block_reduceILj1024EdidEEvT1_S1_PKS1_PKT0_PT2_ll16rocsparse_order_.kd
    .uniform_work_group_size: 1
    .uses_dynamic_stack: false
    .vgpr_count:     33
    .vgpr_spill_count: 0
    .wavefront_size: 32
    .workgroup_processor_mode: 1
  - .args:
      - .offset:         0
        .size:           8
        .value_kind:     by_value
      - .offset:         8
        .size:           8
        .value_kind:     by_value
      - .actual_access:  read_only
        .address_space:  global
        .offset:         16
        .size:           8
        .value_kind:     global_buffer
      - .actual_access:  read_only
        .address_space:  global
        .offset:         24
        .size:           8
        .value_kind:     global_buffer
      - .address_space:  global
        .offset:         32
        .size:           8
        .value_kind:     global_buffer
      - .offset:         40
        .size:           8
        .value_kind:     by_value
      - .offset:         48
        .size:           8
        .value_kind:     by_value
      - .offset:         56
        .size:           4
        .value_kind:     by_value
    .group_segment_fixed_size: 16384
    .kernarg_segment_align: 8
    .kernarg_segment_size: 60
    .language:       OpenCL C
    .language_version:
      - 2
      - 0
    .max_flat_workgroup_size: 1024
    .name:           _ZN9rocsparseL28coommnn_general_block_reduceILj1024EdldEEvT1_S1_PKS1_PKT0_PT2_ll16rocsparse_order_
    .private_segment_fixed_size: 0
    .sgpr_count:     36
    .sgpr_spill_count: 0
    .symbol:         _ZN9rocsparseL28coommnn_general_block_reduceILj1024EdldEEvT1_S1_PKS1_PKT0_PT2_ll16rocsparse_order_.kd
    .uniform_work_group_size: 1
    .uses_dynamic_stack: false
    .vgpr_count:     35
    .vgpr_spill_count: 0
    .wavefront_size: 32
    .workgroup_processor_mode: 1
  - .args:
      - .offset:         0
        .size:           4
        .value_kind:     by_value
      - .offset:         4
        .size:           4
        .value_kind:     by_value
      - .actual_access:  read_only
        .address_space:  global
        .offset:         8
        .size:           8
        .value_kind:     global_buffer
      - .actual_access:  read_only
        .address_space:  global
        .offset:         16
        .size:           8
        .value_kind:     global_buffer
      - .address_space:  global
        .offset:         24
        .size:           8
        .value_kind:     global_buffer
      - .offset:         32
        .size:           8
        .value_kind:     by_value
      - .offset:         40
        .size:           8
        .value_kind:     by_value
      - .offset:         48
        .size:           4
        .value_kind:     by_value
    .group_segment_fixed_size: 12288
    .kernarg_segment_align: 8
    .kernarg_segment_size: 52
    .language:       OpenCL C
    .language_version:
      - 2
      - 0
    .max_flat_workgroup_size: 1024
    .name:           _ZN9rocsparseL28coommnn_general_block_reduceILj1024E21rocsparse_complex_numIfEiS2_EEvT1_S3_PKS3_PKT0_PT2_ll16rocsparse_order_
    .private_segment_fixed_size: 0
    .sgpr_count:     34
    .sgpr_spill_count: 0
    .symbol:         _ZN9rocsparseL28coommnn_general_block_reduceILj1024E21rocsparse_complex_numIfEiS2_EEvT1_S3_PKS3_PKT0_PT2_ll16rocsparse_order_.kd
    .uniform_work_group_size: 1
    .uses_dynamic_stack: false
    .vgpr_count:     33
    .vgpr_spill_count: 0
    .wavefront_size: 32
    .workgroup_processor_mode: 1
  - .args:
      - .offset:         0
        .size:           8
        .value_kind:     by_value
      - .offset:         8
        .size:           8
        .value_kind:     by_value
      - .actual_access:  read_only
        .address_space:  global
        .offset:         16
        .size:           8
        .value_kind:     global_buffer
      - .actual_access:  read_only
        .address_space:  global
        .offset:         24
        .size:           8
        .value_kind:     global_buffer
      - .address_space:  global
        .offset:         32
        .size:           8
        .value_kind:     global_buffer
      - .offset:         40
        .size:           8
        .value_kind:     by_value
      - .offset:         48
        .size:           8
        .value_kind:     by_value
      - .offset:         56
        .size:           4
        .value_kind:     by_value
    .group_segment_fixed_size: 16384
    .kernarg_segment_align: 8
    .kernarg_segment_size: 60
    .language:       OpenCL C
    .language_version:
      - 2
      - 0
    .max_flat_workgroup_size: 1024
    .name:           _ZN9rocsparseL28coommnn_general_block_reduceILj1024E21rocsparse_complex_numIfElS2_EEvT1_S3_PKS3_PKT0_PT2_ll16rocsparse_order_
    .private_segment_fixed_size: 0
    .sgpr_count:     38
    .sgpr_spill_count: 0
    .symbol:         _ZN9rocsparseL28coommnn_general_block_reduceILj1024E21rocsparse_complex_numIfElS2_EEvT1_S3_PKS3_PKT0_PT2_ll16rocsparse_order_.kd
    .uniform_work_group_size: 1
    .uses_dynamic_stack: false
    .vgpr_count:     35
    .vgpr_spill_count: 0
    .wavefront_size: 32
    .workgroup_processor_mode: 1
  - .args:
      - .offset:         0
        .size:           4
        .value_kind:     by_value
      - .offset:         4
        .size:           4
        .value_kind:     by_value
      - .actual_access:  read_only
        .address_space:  global
        .offset:         8
        .size:           8
        .value_kind:     global_buffer
      - .actual_access:  read_only
        .address_space:  global
        .offset:         16
        .size:           8
        .value_kind:     global_buffer
      - .address_space:  global
        .offset:         24
        .size:           8
        .value_kind:     global_buffer
      - .offset:         32
        .size:           8
        .value_kind:     by_value
      - .offset:         40
        .size:           8
        .value_kind:     by_value
      - .offset:         48
        .size:           4
        .value_kind:     by_value
    .group_segment_fixed_size: 20480
    .kernarg_segment_align: 8
    .kernarg_segment_size: 52
    .language:       OpenCL C
    .language_version:
      - 2
      - 0
    .max_flat_workgroup_size: 1024
    .name:           _ZN9rocsparseL28coommnn_general_block_reduceILj1024E21rocsparse_complex_numIdEiS2_EEvT1_S3_PKS3_PKT0_PT2_ll16rocsparse_order_
    .private_segment_fixed_size: 0
    .sgpr_count:     34
    .sgpr_spill_count: 0
    .symbol:         _ZN9rocsparseL28coommnn_general_block_reduceILj1024E21rocsparse_complex_numIdEiS2_EEvT1_S3_PKS3_PKT0_PT2_ll16rocsparse_order_.kd
    .uniform_work_group_size: 1
    .uses_dynamic_stack: false
    .vgpr_count:     39
    .vgpr_spill_count: 0
    .wavefront_size: 32
    .workgroup_processor_mode: 1
  - .args:
      - .offset:         0
        .size:           8
        .value_kind:     by_value
      - .offset:         8
        .size:           8
        .value_kind:     by_value
      - .actual_access:  read_only
        .address_space:  global
        .offset:         16
        .size:           8
        .value_kind:     global_buffer
      - .actual_access:  read_only
        .address_space:  global
        .offset:         24
        .size:           8
        .value_kind:     global_buffer
      - .address_space:  global
        .offset:         32
        .size:           8
        .value_kind:     global_buffer
      - .offset:         40
        .size:           8
        .value_kind:     by_value
      - .offset:         48
        .size:           8
        .value_kind:     by_value
      - .offset:         56
        .size:           4
        .value_kind:     by_value
    .group_segment_fixed_size: 24576
    .kernarg_segment_align: 8
    .kernarg_segment_size: 60
    .language:       OpenCL C
    .language_version:
      - 2
      - 0
    .max_flat_workgroup_size: 1024
    .name:           _ZN9rocsparseL28coommnn_general_block_reduceILj1024E21rocsparse_complex_numIdElS2_EEvT1_S3_PKS3_PKT0_PT2_ll16rocsparse_order_
    .private_segment_fixed_size: 0
    .sgpr_count:     38
    .sgpr_spill_count: 0
    .symbol:         _ZN9rocsparseL28coommnn_general_block_reduceILj1024E21rocsparse_complex_numIdElS2_EEvT1_S3_PKS3_PKT0_PT2_ll16rocsparse_order_.kd
    .uniform_work_group_size: 1
    .uses_dynamic_stack: false
    .vgpr_count:     41
    .vgpr_spill_count: 0
    .wavefront_size: 32
    .workgroup_processor_mode: 1
  - .args:
      - .offset:         0
        .size:           4
        .value_kind:     by_value
      - .offset:         4
        .size:           4
        .value_kind:     by_value
      - .actual_access:  read_only
        .address_space:  global
        .offset:         8
        .size:           8
        .value_kind:     global_buffer
      - .actual_access:  read_only
        .address_space:  global
        .offset:         16
        .size:           8
        .value_kind:     global_buffer
      - .address_space:  global
        .offset:         24
        .size:           8
        .value_kind:     global_buffer
      - .offset:         32
        .size:           8
        .value_kind:     by_value
      - .offset:         40
        .size:           8
        .value_kind:     by_value
      - .offset:         48
        .size:           4
        .value_kind:     by_value
    .group_segment_fixed_size: 8192
    .kernarg_segment_align: 8
    .kernarg_segment_size: 52
    .language:       OpenCL C
    .language_version:
      - 2
      - 0
    .max_flat_workgroup_size: 1024
    .name:           _ZN9rocsparseL28coommnn_general_block_reduceILj1024EiiiEEvT1_S1_PKS1_PKT0_PT2_ll16rocsparse_order_
    .private_segment_fixed_size: 0
    .sgpr_count:     34
    .sgpr_spill_count: 0
    .symbol:         _ZN9rocsparseL28coommnn_general_block_reduceILj1024EiiiEEvT1_S1_PKS1_PKT0_PT2_ll16rocsparse_order_.kd
    .uniform_work_group_size: 1
    .uses_dynamic_stack: false
    .vgpr_count:     32
    .vgpr_spill_count: 0
    .wavefront_size: 32
    .workgroup_processor_mode: 1
  - .args:
      - .offset:         0
        .size:           8
        .value_kind:     by_value
      - .offset:         8
        .size:           8
        .value_kind:     by_value
      - .actual_access:  read_only
        .address_space:  global
        .offset:         16
        .size:           8
        .value_kind:     global_buffer
      - .actual_access:  read_only
        .address_space:  global
        .offset:         24
        .size:           8
        .value_kind:     global_buffer
      - .address_space:  global
        .offset:         32
        .size:           8
        .value_kind:     global_buffer
      - .offset:         40
        .size:           8
        .value_kind:     by_value
      - .offset:         48
        .size:           8
        .value_kind:     by_value
      - .offset:         56
        .size:           4
        .value_kind:     by_value
    .group_segment_fixed_size: 12288
    .kernarg_segment_align: 8
    .kernarg_segment_size: 60
    .language:       OpenCL C
    .language_version:
      - 2
      - 0
    .max_flat_workgroup_size: 1024
    .name:           _ZN9rocsparseL28coommnn_general_block_reduceILj1024EiliEEvT1_S1_PKS1_PKT0_PT2_ll16rocsparse_order_
    .private_segment_fixed_size: 0
    .sgpr_count:     36
    .sgpr_spill_count: 0
    .symbol:         _ZN9rocsparseL28coommnn_general_block_reduceILj1024EiliEEvT1_S1_PKS1_PKT0_PT2_ll16rocsparse_order_.kd
    .uniform_work_group_size: 1
    .uses_dynamic_stack: false
    .vgpr_count:     34
    .vgpr_spill_count: 0
    .wavefront_size: 32
    .workgroup_processor_mode: 1
amdhsa.target:   amdgcn-amd-amdhsa--gfx1100
amdhsa.version:
  - 1
  - 2
...

	.end_amdgpu_metadata
